;; amdgpu-corpus repo=ROCm/rocFFT kind=compiled arch=gfx1201 opt=O3
	.text
	.amdgcn_target "amdgcn-amd-amdhsa--gfx1201"
	.amdhsa_code_object_version 6
	.protected	bluestein_single_back_len264_dim1_sp_op_CI_CI ; -- Begin function bluestein_single_back_len264_dim1_sp_op_CI_CI
	.globl	bluestein_single_back_len264_dim1_sp_op_CI_CI
	.p2align	8
	.type	bluestein_single_back_len264_dim1_sp_op_CI_CI,@function
bluestein_single_back_len264_dim1_sp_op_CI_CI: ; @bluestein_single_back_len264_dim1_sp_op_CI_CI
; %bb.0:
	s_load_b128 s[16:19], s[0:1], 0x28
	v_mul_u32_u24_e32 v1, 0x7c2, v0
	s_mov_b32 s2, exec_lo
	s_delay_alu instid0(VALU_DEP_1) | instskip(NEXT) | instid1(VALU_DEP_1)
	v_lshrrev_b32_e32 v1, 16, v1
	v_mad_co_u64_u32 v[52:53], null, ttmp9, 7, v[1:2]
	v_mov_b32_e32 v53, 0
	s_wait_kmcnt 0x0
	s_delay_alu instid0(VALU_DEP_1)
	v_cmpx_gt_u64_e64 s[16:17], v[52:53]
	s_cbranch_execz .LBB0_18
; %bb.1:
	s_clause 0x1
	s_load_b128 s[4:7], s[0:1], 0x18
	s_load_b128 s[8:11], s[0:1], 0x0
	v_mul_lo_u16 v1, v1, 33
	v_mul_hi_u32 v16, 0x24924925, v52
	s_delay_alu instid0(VALU_DEP_2) | instskip(NEXT) | instid1(VALU_DEP_2)
	v_sub_nc_u16 v20, v0, v1
	v_sub_nc_u32_e32 v17, v52, v16
	s_delay_alu instid0(VALU_DEP_2) | instskip(NEXT) | instid1(VALU_DEP_2)
	v_and_b32_e32 v75, 0xffff, v20
	v_lshrrev_b32_e32 v17, 1, v17
	s_delay_alu instid0(VALU_DEP_2)
	v_lshlrev_b32_e32 v78, 3, v75
	s_wait_kmcnt 0x0
	s_load_b128 s[12:15], s[4:5], 0x0
	s_clause 0x3
	global_load_b64 v[53:54], v78, s[8:9]
	global_load_b64 v[55:56], v78, s[8:9] offset:264
	global_load_b64 v[57:58], v78, s[8:9] offset:528
	;; [unrolled: 1-line block ×3, first 2 shown]
	v_add_nc_u32_e32 v16, v17, v16
	s_clause 0x1
	global_load_b64 v[63:64], v78, s[8:9] offset:1056
	global_load_b64 v[61:62], v78, s[8:9] offset:1320
	v_lshrrev_b32_e32 v16, 2, v16
	s_delay_alu instid0(VALU_DEP_1) | instskip(SKIP_4) | instid1(VALU_DEP_3)
	v_mul_lo_u32 v16, v16, 7
	s_wait_kmcnt 0x0
	v_mad_co_u64_u32 v[0:1], null, s14, v52, 0
	v_mad_co_u64_u32 v[2:3], null, s12, v75, 0
	s_mul_u64 s[2:3], s[12:13], 0x108
	v_sub_nc_u32_e32 v16, v52, v16
	s_delay_alu instid0(VALU_DEP_2) | instskip(NEXT) | instid1(VALU_DEP_2)
	v_mad_co_u64_u32 v[4:5], null, s15, v52, v[1:2]
	v_mul_u32_u24_e32 v16, 0x108, v16
	s_delay_alu instid0(VALU_DEP_1) | instskip(NEXT) | instid1(VALU_DEP_3)
	v_lshlrev_b32_e32 v77, 3, v16
	v_mov_b32_e32 v1, v4
	v_mad_co_u64_u32 v[5:6], null, s13, v75, v[3:4]
	s_delay_alu instid0(VALU_DEP_3) | instskip(NEXT) | instid1(VALU_DEP_3)
	v_add_nc_u32_e32 v76, v78, v77
	v_lshlrev_b64_e32 v[0:1], 3, v[0:1]
	s_delay_alu instid0(VALU_DEP_3) | instskip(NEXT) | instid1(VALU_DEP_2)
	v_mov_b32_e32 v3, v5
	v_add_co_u32 v0, vcc_lo, s18, v0
	s_delay_alu instid0(VALU_DEP_3) | instskip(NEXT) | instid1(VALU_DEP_3)
	v_add_co_ci_u32_e32 v1, vcc_lo, s19, v1, vcc_lo
	v_lshlrev_b64_e32 v[2:3], 3, v[2:3]
	s_delay_alu instid0(VALU_DEP_1) | instskip(SKIP_1) | instid1(VALU_DEP_2)
	v_add_co_u32 v0, vcc_lo, v0, v2
	s_wait_alu 0xfffd
	v_add_co_ci_u32_e32 v1, vcc_lo, v1, v3, vcc_lo
	s_delay_alu instid0(VALU_DEP_2) | instskip(SKIP_1) | instid1(VALU_DEP_2)
	v_add_co_u32 v2, vcc_lo, v0, s2
	s_wait_alu 0xfffd
	v_add_co_ci_u32_e32 v3, vcc_lo, s3, v1, vcc_lo
	global_load_b64 v[0:1], v[0:1], off
	v_add_co_u32 v4, vcc_lo, v2, s2
	s_wait_alu 0xfffd
	v_add_co_ci_u32_e32 v5, vcc_lo, s3, v3, vcc_lo
	global_load_b64 v[2:3], v[2:3], off
	;; [unrolled: 4-line block ×3, first 2 shown]
	v_add_co_u32 v8, vcc_lo, v6, s2
	s_wait_alu 0xfffd
	v_add_co_ci_u32_e32 v9, vcc_lo, s3, v7, vcc_lo
	s_delay_alu instid0(VALU_DEP_2) | instskip(SKIP_1) | instid1(VALU_DEP_2)
	v_add_co_u32 v10, vcc_lo, v8, s2
	s_wait_alu 0xfffd
	v_add_co_ci_u32_e32 v11, vcc_lo, s3, v9, vcc_lo
	s_clause 0x1
	global_load_b64 v[6:7], v[6:7], off
	global_load_b64 v[8:9], v[8:9], off
	v_add_co_u32 v12, vcc_lo, v10, s2
	s_wait_alu 0xfffd
	v_add_co_ci_u32_e32 v13, vcc_lo, s3, v11, vcc_lo
	global_load_b64 v[10:11], v[10:11], off
	v_add_co_u32 v14, vcc_lo, v12, s2
	s_wait_alu 0xfffd
	v_add_co_ci_u32_e32 v15, vcc_lo, s3, v13, vcc_lo
	s_load_b64 s[2:3], s[0:1], 0x38
	v_cmp_gt_u16_e32 vcc_lo, 22, v20
	global_load_b64 v[12:13], v[12:13], off
	s_clause 0x1
	global_load_b64 v[65:66], v78, s[8:9] offset:1584
	global_load_b64 v[67:68], v78, s[8:9] offset:1848
	global_load_b64 v[14:15], v[14:15], off
	s_load_b128 s[4:7], s[6:7], 0x0
	s_wait_loadcnt 0x9
	v_mul_f32_e32 v16, v1, v54
	v_mul_f32_e32 v17, v0, v54
	s_delay_alu instid0(VALU_DEP_2)
	v_fmac_f32_e32 v16, v0, v53
	s_wait_loadcnt 0x8
	v_mul_f32_e32 v0, v3, v56
	v_mul_f32_e32 v19, v2, v56
	v_fma_f32 v17, v1, v53, -v17
	s_wait_loadcnt 0x7
	v_mul_f32_e32 v18, v5, v58
	v_dual_mul_f32 v21, v4, v58 :: v_dual_fmac_f32 v0, v2, v55
	v_fma_f32 v1, v3, v55, -v19
	s_delay_alu instid0(VALU_DEP_3) | instskip(NEXT) | instid1(VALU_DEP_3)
	v_fmac_f32_e32 v18, v4, v57
	v_fma_f32 v19, v5, v57, -v21
	s_wait_loadcnt 0x6
	v_mul_f32_e32 v3, v6, v60
	v_mul_f32_e32 v2, v7, v60
	s_wait_loadcnt 0x5
	v_mul_f32_e32 v4, v9, v64
	v_mul_f32_e32 v5, v8, v64
	v_fma_f32 v3, v7, v59, -v3
	s_wait_loadcnt 0x4
	v_mul_f32_e32 v7, v10, v62
	v_fmac_f32_e32 v2, v6, v59
	v_mul_f32_e32 v6, v11, v62
	v_fma_f32 v5, v9, v63, -v5
	s_wait_loadcnt 0x2
	v_mul_f32_e32 v9, v12, v66
	v_fmac_f32_e32 v4, v8, v63
	;; [unrolled: 5-line block ×3, first 2 shown]
	v_mul_f32_e32 v10, v15, v68
	v_fmac_f32_e32 v8, v12, v65
	v_fma_f32 v9, v13, v65, -v9
	v_fma_f32 v11, v15, v67, -v21
	s_delay_alu instid0(VALU_DEP_4)
	v_fmac_f32_e32 v10, v14, v67
	ds_store_2addr_b64 v76, v[16:17], v[0:1] offset1:33
	ds_store_2addr_b64 v76, v[18:19], v[2:3] offset0:66 offset1:99
	ds_store_2addr_b64 v76, v[4:5], v[6:7] offset0:132 offset1:165
	;; [unrolled: 1-line block ×3, first 2 shown]
	global_wb scope:SCOPE_SE
	s_wait_dscnt 0x0
	s_wait_kmcnt 0x0
	s_barrier_signal -1
	s_barrier_wait -1
	global_inv scope:SCOPE_SE
	ds_load_2addr_b64 v[0:3], v76 offset1:33
	ds_load_2addr_b64 v[4:7], v76 offset0:132 offset1:165
	ds_load_2addr_b64 v[8:11], v76 offset0:66 offset1:99
	;; [unrolled: 1-line block ×3, first 2 shown]
	v_lshlrev_b16 v16, 3, v20
	global_wb scope:SCOPE_SE
	s_wait_dscnt 0x0
	s_barrier_signal -1
	s_barrier_wait -1
	global_inv scope:SCOPE_SE
	v_sub_f32_e32 v7, v3, v7
	v_dual_sub_f32 v5, v1, v5 :: v_dual_sub_f32 v14, v10, v14
	v_sub_f32_e32 v13, v9, v13
	v_sub_f32_e32 v15, v11, v15
	s_delay_alu instid0(VALU_DEP_4) | instskip(NEXT) | instid1(VALU_DEP_4)
	v_fma_f32 v3, v3, 2.0, -v7
	v_fma_f32 v1, v1, 2.0, -v5
	;; [unrolled: 1-line block ×3, first 2 shown]
	v_add_f32_e32 v14, v7, v14
	v_fma_f32 v9, v9, 2.0, -v13
	v_fma_f32 v11, v11, 2.0, -v15
	v_and_b32_e32 v16, 0xffff, v16
	s_delay_alu instid0(VALU_DEP_4) | instskip(NEXT) | instid1(VALU_DEP_4)
	v_fma_f32 v7, v7, 2.0, -v14
	v_dual_sub_f32 v12, v8, v12 :: v_dual_sub_f32 v9, v1, v9
	v_sub_f32_e32 v6, v2, v6
	s_delay_alu instid0(VALU_DEP_2) | instskip(SKIP_1) | instid1(VALU_DEP_3)
	v_fma_f32 v8, v8, 2.0, -v12
	v_add_f32_e32 v12, v5, v12
	v_fma_f32 v2, v2, 2.0, -v6
	s_delay_alu instid0(VALU_DEP_2) | instskip(SKIP_3) | instid1(VALU_DEP_3)
	v_fma_f32 v17, v5, 2.0, -v12
	v_sub_f32_e32 v5, v3, v11
	v_fma_f32 v11, v1, 2.0, -v9
	v_lshl_add_u32 v80, v16, 3, v77
	v_fma_f32 v1, v3, 2.0, -v5
	v_fmamk_f32 v3, v7, 0xbf3504f3, v17
	s_delay_alu instid0(VALU_DEP_2) | instskip(SKIP_1) | instid1(VALU_DEP_2)
	v_dual_sub_f32 v1, v11, v1 :: v_dual_sub_f32 v4, v0, v4
	v_fmamk_f32 v39, v14, 0x3f3504f3, v12
	v_sub_f32_e32 v13, v4, v13
	v_fma_f32 v0, v0, 2.0, -v4
	s_delay_alu instid0(VALU_DEP_2) | instskip(SKIP_1) | instid1(VALU_DEP_1)
	v_fma_f32 v16, v4, 2.0, -v13
	v_sub_f32_e32 v4, v2, v10
	v_add_f32_e32 v37, v9, v4
	v_sub_f32_e32 v15, v6, v15
	s_delay_alu instid0(VALU_DEP_1) | instskip(SKIP_3) | instid1(VALU_DEP_4)
	v_fma_f32 v6, v6, 2.0, -v15
	v_sub_f32_e32 v8, v0, v8
	v_fmamk_f32 v38, v15, 0x3f3504f3, v13
	v_fmac_f32_e32 v39, 0x3f3504f3, v15
	v_fmac_f32_e32 v3, 0x3f3504f3, v6
	s_delay_alu instid0(VALU_DEP_4)
	v_fma_f32 v10, v0, 2.0, -v8
	v_fma_f32 v0, v2, 2.0, -v4
	v_fmamk_f32 v2, v6, 0xbf3504f3, v16
	v_sub_f32_e32 v36, v8, v5
	v_fmac_f32_e32 v38, 0xbf3504f3, v14
	v_fma_f32 v5, v9, 2.0, -v37
	v_fma_f32 v9, v11, 2.0, -v1
	v_sub_f32_e32 v0, v10, v0
	v_fmac_f32_e32 v2, 0xbf3504f3, v7
	v_fma_f32 v4, v8, 2.0, -v36
	v_fma_f32 v11, v17, 2.0, -v3
	;; [unrolled: 1-line block ×6, first 2 shown]
	ds_store_b128 v80, v[0:3] offset:32
	ds_store_b128 v80, v[36:39] offset:48
	ds_store_b128 v80, v[8:11]
	ds_store_b128 v80, v[4:7] offset:16
	global_wb scope:SCOPE_SE
	s_wait_dscnt 0x0
	s_barrier_signal -1
	s_barrier_wait -1
	global_inv scope:SCOPE_SE
	ds_load_2addr_b64 v[40:43], v76 offset1:33
	ds_load_2addr_b64 v[0:3], v76 offset0:88 offset1:121
	ds_load_2addr_b64 v[8:11], v76 offset0:176 offset1:209
                                        ; implicit-def: $vgpr12
	s_and_saveexec_b32 s0, vcc_lo
	s_cbranch_execz .LBB0_3
; %bb.2:
	ds_load_2addr_b64 v[36:39], v76 offset0:66 offset1:154
	ds_load_b64 v[12:13], v76 offset:1936
.LBB0_3:
	s_wait_alu 0xfffe
	s_or_b32 exec_lo, exec_lo, s0
	v_and_b32_e32 v14, 7, v75
	v_add_co_u32 v24, null, 0x42, v75
	v_lshrrev_b32_e32 v26, 3, v75
	s_delay_alu instid0(VALU_DEP_3) | instskip(NEXT) | instid1(VALU_DEP_3)
	v_lshlrev_b32_e32 v4, 4, v14
	v_lshrrev_b32_e32 v81, 3, v24
	s_delay_alu instid0(VALU_DEP_3) | instskip(SKIP_4) | instid1(VALU_DEP_1)
	v_mul_u32_u24_e32 v26, 24, v26
	global_load_b128 v[16:19], v4, s[10:11]
	v_add_nc_u32_e32 v15, 33, v75
	v_and_b32_e32 v79, 7, v24
	v_or_b32_e32 v14, v26, v14
	v_lshl_add_u32 v83, v14, 3, v77
	s_wait_loadcnt_dscnt 0x0
	v_mul_f32_e32 v26, v8, v19
	v_dual_mul_f32 v24, v0, v17 :: v_dual_and_b32 v25, 7, v15
	v_lshlrev_b32_e32 v5, 4, v79
	v_lshrrev_b32_e32 v15, 3, v15
	s_delay_alu instid0(VALU_DEP_4) | instskip(NEXT) | instid1(VALU_DEP_4)
	v_fmac_f32_e32 v26, v9, v18
	v_fmac_f32_e32 v24, v1, v16
	v_lshlrev_b32_e32 v4, 4, v25
	s_clause 0x1
	global_load_b128 v[20:23], v4, s[10:11]
	global_load_b128 v[4:7], v5, s[10:11]
	v_mul_u32_u24_e32 v15, 24, v15
	global_wb scope:SCOPE_SE
	s_wait_loadcnt 0x0
	s_barrier_signal -1
	s_barrier_wait -1
	global_inv scope:SCOPE_SE
	v_or_b32_e32 v14, v15, v25
	v_mul_f32_e32 v15, v1, v17
	v_mul_f32_e32 v25, v9, v19
	s_delay_alu instid0(VALU_DEP_3) | instskip(NEXT) | instid1(VALU_DEP_3)
	v_lshl_add_u32 v82, v14, 3, v77
	v_fma_f32 v0, v0, v16, -v15
	s_delay_alu instid0(VALU_DEP_3)
	v_fma_f32 v1, v8, v18, -v25
	v_mul_f32_e32 v15, v10, v23
	v_dual_mul_f32 v9, v2, v21 :: v_dual_mul_f32 v14, v11, v23
	v_dual_mul_f32 v25, v39, v5 :: v_dual_mul_f32 v28, v13, v7
	;; [unrolled: 1-line block ×3, first 2 shown]
	v_mul_f32_e32 v27, v38, v5
	s_delay_alu instid0(VALU_DEP_4)
	v_fmac_f32_e32 v9, v3, v20
	v_fma_f32 v3, v10, v22, -v14
	v_fmac_f32_e32 v15, v11, v22
	v_fma_f32 v10, v12, v6, -v28
	v_add_f32_e32 v12, v0, v1
	v_fma_f32 v2, v2, v20, -v8
	v_fma_f32 v8, v38, v4, -v25
	v_add_f32_e32 v11, v40, v0
	v_add_f32_e32 v14, v41, v24
	v_dual_fmac_f32 v27, v39, v4 :: v_dual_sub_f32 v0, v0, v1
	v_fma_f32 v44, -0.5, v12, v40
	v_sub_f32_e32 v12, v9, v15
	v_dual_fmac_f32 v29, v13, v6 :: v_dual_add_f32 v32, v11, v1
	v_sub_f32_e32 v13, v24, v26
	v_add_f32_e32 v24, v24, v26
	v_add_f32_e32 v33, v14, v26
	s_delay_alu instid0(VALU_DEP_4)
	v_dual_add_f32 v1, v42, v2 :: v_dual_sub_f32 v26, v27, v29
	v_dual_add_f32 v11, v2, v3 :: v_dual_add_f32 v14, v43, v9
	v_add_f32_e32 v9, v9, v15
	v_dual_sub_f32 v2, v2, v3 :: v_dual_add_f32 v25, v8, v10
	v_dual_add_f32 v28, v37, v27 :: v_dual_add_f32 v27, v27, v29
	v_fma_f32 v45, -0.5, v24, v41
	v_add_f32_e32 v24, v36, v8
	v_sub_f32_e32 v8, v8, v10
	v_fmamk_f32 v34, v13, 0x3f5db3d7, v44
	v_fmac_f32_e32 v44, 0xbf5db3d7, v13
	v_fma_f32 v42, -0.5, v11, v42
	v_fmac_f32_e32 v43, -0.5, v9
	v_dual_fmac_f32 v36, -0.5, v25 :: v_dual_fmac_f32 v37, -0.5, v27
	v_dual_fmamk_f32 v35, v0, 0xbf5db3d7, v45 :: v_dual_add_f32 v46, v1, v3
	v_fmac_f32_e32 v45, 0x3f5db3d7, v0
	v_dual_add_f32 v47, v14, v15 :: v_dual_add_f32 v48, v24, v10
	v_add_f32_e32 v49, v28, v29
	v_fmamk_f32 v40, v12, 0x3f5db3d7, v42
	v_dual_fmac_f32 v42, 0xbf5db3d7, v12 :: v_dual_fmamk_f32 v41, v2, 0xbf5db3d7, v43
	v_dual_fmac_f32 v43, 0x3f5db3d7, v2 :: v_dual_fmamk_f32 v50, v26, 0x3f5db3d7, v36
	;; [unrolled: 1-line block ×3, first 2 shown]
	v_fmac_f32_e32 v37, 0x3f5db3d7, v8
	ds_store_2addr_b64 v83, v[32:33], v[34:35] offset1:8
	ds_store_b64 v83, v[44:45] offset:128
	ds_store_2addr_b64 v82, v[46:47], v[40:41] offset1:8
	ds_store_b64 v82, v[42:43] offset:128
	s_and_saveexec_b32 s0, vcc_lo
	s_cbranch_execz .LBB0_5
; %bb.4:
	v_mul_u32_u24_e32 v0, 24, v81
	s_delay_alu instid0(VALU_DEP_1) | instskip(NEXT) | instid1(VALU_DEP_1)
	v_or_b32_e32 v0, v0, v79
	v_lshl_add_u32 v0, v0, 3, v77
	ds_store_2addr_b64 v0, v[48:49], v[50:51] offset1:8
	ds_store_b64 v0, v[36:37] offset:128
.LBB0_5:
	s_wait_alu 0xfffe
	s_or_b32 exec_lo, exec_lo, s0
	v_add_co_u32 v73, s0, s8, v78
	s_wait_alu 0xf1ff
	v_add_co_ci_u32_e64 v74, null, s9, 0, s0
	v_cmp_gt_u16_e64 s0, 24, v75
	global_wb scope:SCOPE_SE
	s_wait_dscnt 0x0
	s_barrier_signal -1
	s_barrier_wait -1
	global_inv scope:SCOPE_SE
                                        ; implicit-def: $vgpr69
	s_and_saveexec_b32 s1, s0
	s_cbranch_execz .LBB0_7
; %bb.6:
	ds_load_2addr_b64 v[32:35], v76 offset1:24
	ds_load_2addr_b64 v[44:47], v76 offset0:48 offset1:72
	ds_load_2addr_b64 v[40:43], v76 offset0:96 offset1:120
	;; [unrolled: 1-line block ×4, first 2 shown]
	ds_load_b64 v[69:70], v76 offset:1920
.LBB0_7:
	s_wait_alu 0xfffe
	s_or_b32 exec_lo, exec_lo, s1
	v_subrev_nc_u32_e32 v0, 24, v75
	s_delay_alu instid0(VALU_DEP_1) | instskip(NEXT) | instid1(VALU_DEP_1)
	v_cndmask_b32_e64 v0, v0, v75, s0
	v_mul_i32_i24_e32 v1, 0x50, v0
	v_mul_hi_i32_i24_e32 v0, 0x50, v0
	s_delay_alu instid0(VALU_DEP_2) | instskip(SKIP_1) | instid1(VALU_DEP_2)
	v_add_co_u32 v28, s1, s10, v1
	s_wait_alu 0xf1ff
	v_add_co_ci_u32_e64 v29, s1, s11, v0, s1
	s_clause 0x4
	global_load_b128 v[24:27], v[28:29], off offset:128
	global_load_b128 v[8:11], v[28:29], off offset:144
	;; [unrolled: 1-line block ×5, first 2 shown]
	s_wait_loadcnt_dscnt 0x404
	v_dual_mul_f32 v71, v35, v25 :: v_dual_mul_f32 v72, v45, v27
	v_dual_mul_f32 v93, v34, v25 :: v_dual_mul_f32 v92, v44, v27
	s_wait_loadcnt_dscnt 0x303
	v_dual_mul_f32 v96, v47, v9 :: v_dual_mul_f32 v97, v41, v11
	s_wait_loadcnt_dscnt 0x101
	;; [unrolled: 2-line block ×3, first 2 shown]
	v_dual_mul_f32 v102, v39, v29 :: v_dual_mul_f32 v103, v70, v31
	v_dual_mul_f32 v91, v46, v9 :: v_dual_mul_f32 v90, v40, v11
	;; [unrolled: 1-line block ×5, first 2 shown]
	v_fma_f32 v95, v34, v24, -v71
	v_dual_fmac_f32 v93, v35, v24 :: v_dual_fmac_f32 v92, v45, v26
	v_fma_f32 v45, v40, v10, -v97
	v_fma_f32 v40, v36, v14, -v101
	;; [unrolled: 1-line block ×3, first 2 shown]
	v_dual_mul_f32 v89, v42, v1 :: v_dual_mul_f32 v88, v48, v3
	v_fma_f32 v94, v44, v26, -v72
	v_dual_fmac_f32 v91, v47, v8 :: v_dual_fmac_f32 v90, v41, v10
	v_fma_f32 v44, v42, v0, -v98
	v_fma_f32 v42, v48, v2, -v99
	;; [unrolled: 1-line block ×3, first 2 shown]
	v_dual_fmac_f32 v87, v51, v12 :: v_dual_fmac_f32 v84, v70, v30
	v_dual_fmac_f32 v86, v37, v14 :: v_dual_fmac_f32 v85, v39, v28
	v_fma_f32 v37, v38, v28, -v102
	s_delay_alu instid0(VALU_DEP_4) | instskip(SKIP_2) | instid1(VALU_DEP_4)
	v_dual_sub_f32 v117, v95, v36 :: v_dual_add_f32 v50, v45, v41
	v_fma_f32 v46, v46, v8, -v96
	v_dual_fmac_f32 v89, v43, v0 :: v_dual_fmac_f32 v88, v49, v2
	v_dual_add_f32 v39, v93, v84 :: v_dual_sub_f32 v122, v94, v37
	v_dual_sub_f32 v127, v45, v41 :: v_dual_sub_f32 v126, v44, v42
	v_dual_mul_f32 v107, 0xbf0a6770, v117 :: v_dual_sub_f32 v108, v93, v84
	v_add_f32_e32 v47, v92, v85
	v_dual_add_f32 v49, v91, v86 :: v_dual_sub_f32 v124, v46, v40
	v_dual_sub_f32 v121, v90, v87 :: v_dual_mul_f32 v120, 0xbf68dda4, v117
	v_dual_sub_f32 v123, v89, v88 :: v_dual_mul_f32 v106, 0xbf68dda4, v122
	v_mul_f32_e32 v136, 0xbf0a6770, v127
	v_fma_f32 v35, 0x3f575c64, v39, -v107
	v_mul_f32_e32 v118, 0x3e903f40, v124
	v_fma_f32 v70, 0x3ed4b147, v39, -v120
	;; [unrolled: 2-line block ×3, first 2 shown]
	v_add_f32_e32 v35, v33, v35
	v_dual_add_f32 v51, v90, v87 :: v_dual_add_f32 v96, v44, v42
	v_dual_mul_f32 v119, 0xbf4178ce, v122 :: v_dual_mul_f32 v102, 0xbf4178ce, v127
	s_delay_alu instid0(VALU_DEP_3)
	v_dual_mul_f32 v110, 0x3f7d64f0, v121 :: v_dual_add_f32 v35, v72, v35
	v_add_f32_e32 v70, v33, v70
	v_fma_f32 v141, 0xbe11bafb, v49, -v103
	v_dual_add_f32 v38, v95, v36 :: v_dual_add_f32 v43, v94, v37
	v_dual_sub_f32 v111, v92, v85 :: v_dual_add_f32 v48, v46, v40
	v_dual_sub_f32 v115, v91, v86 :: v_dual_mul_f32 v114, 0xbf68dda4, v108
	v_dual_mul_f32 v105, 0xbf0a6770, v108 :: v_dual_mul_f32 v130, 0xbf0a6770, v121
	v_dual_mul_f32 v100, 0xbe903f40, v126 :: v_dual_add_f32 v35, v141, v35
	v_fma_f32 v139, 0xbf27a4f4, v47, -v119
	v_fma_f32 v143, 0xbf27a4f4, v51, -v102
	v_mul_f32_e32 v129, 0x3f68dda4, v115
	v_fmamk_f32 v34, v38, 0x3f575c64, v105
	v_dual_mul_f32 v101, 0xbf7d64f0, v115 :: v_dual_mul_f32 v132, 0xbf7d64f0, v108
	v_dual_add_f32 v70, v139, v70 :: v_dual_fmamk_f32 v69, v38, 0x3ed4b147, v114
	s_delay_alu instid0(VALU_DEP_4) | instskip(NEXT) | instid1(VALU_DEP_4)
	v_dual_fmamk_f32 v156, v48, 0x3ed4b147, v129 :: v_dual_add_f32 v35, v143, v35
	v_dual_mul_f32 v113, 0xbf4178ce, v111 :: v_dual_add_f32 v34, v32, v34
	s_delay_alu instid0(VALU_DEP_3) | instskip(SKIP_1) | instid1(VALU_DEP_3)
	v_dual_mul_f32 v112, 0x3e903f40, v115 :: v_dual_add_f32 v69, v32, v69
	v_fmamk_f32 v148, v50, 0xbe11bafb, v110
	v_dual_fmamk_f32 v138, v43, 0xbf27a4f4, v113 :: v_dual_add_f32 v97, v89, v88
	v_mul_f32_e32 v104, 0xbf68dda4, v111
	v_mul_f32_e32 v116, 0x3f7d64f0, v127
	v_fmamk_f32 v146, v48, 0xbf75a155, v112
	v_fma_f32 v147, 0xbf75a155, v49, -v118
	v_fmamk_f32 v152, v38, 0xbe11bafb, v132
	v_mul_f32_e32 v99, 0xbf4178ce, v121
	v_dual_add_f32 v69, v138, v69 :: v_dual_mul_f32 v128, 0x3e903f40, v111
	v_fma_f32 v149, 0xbe11bafb, v51, -v116
	s_delay_alu instid0(VALU_DEP_4) | instskip(NEXT) | instid1(VALU_DEP_4)
	v_add_f32_e32 v152, v32, v152
	v_fmamk_f32 v142, v50, 0xbf27a4f4, v99
	v_fmamk_f32 v71, v43, 0x3ed4b147, v104
	v_mul_f32_e32 v137, 0xbf7d64f0, v117
	v_dual_add_f32 v69, v146, v69 :: v_dual_add_f32 v70, v147, v70
	v_fmamk_f32 v153, v43, 0xbf75a155, v128
	s_delay_alu instid0(VALU_DEP_4) | instskip(NEXT) | instid1(VALU_DEP_4)
	v_add_f32_e32 v34, v71, v34
	v_fma_f32 v154, 0xbe11bafb, v39, -v137
	s_delay_alu instid0(VALU_DEP_4) | instskip(NEXT) | instid1(VALU_DEP_4)
	v_dual_mul_f32 v109, 0x3f0a6770, v123 :: v_dual_add_f32 v70, v149, v70
	v_dual_mul_f32 v98, 0xbe903f40, v123 :: v_dual_add_f32 v71, v153, v152
	v_mul_f32_e32 v134, 0x3e903f40, v122
	s_delay_alu instid0(VALU_DEP_4) | instskip(SKIP_1) | instid1(VALU_DEP_4)
	v_add_f32_e32 v154, v33, v154
	v_fma_f32 v159, 0x3f575c64, v51, -v136
	v_dual_fmamk_f32 v158, v50, 0x3f575c64, v130 :: v_dual_add_f32 v71, v156, v71
	s_delay_alu instid0(VALU_DEP_4)
	v_fma_f32 v155, 0xbf75a155, v47, -v134
	v_mul_f32_e32 v135, 0x3f68dda4, v124
	v_mul_f32_e32 v133, 0xbf4178ce, v126
	v_fma_f32 v145, 0xbf75a155, v97, -v100
	v_add_f32_e32 v138, v158, v71
	v_add_f32_e32 v72, v155, v154
	v_fma_f32 v157, 0x3ed4b147, v49, -v135
	v_mul_f32_e32 v125, 0x3f0a6770, v126
	v_fmamk_f32 v150, v96, 0x3f575c64, v109
	v_fma_f32 v161, 0xbf27a4f4, v97, -v133
	s_delay_alu instid0(VALU_DEP_4) | instskip(SKIP_3) | instid1(VALU_DEP_4)
	v_dual_add_f32 v69, v148, v69 :: v_dual_add_f32 v72, v157, v72
	v_fmamk_f32 v140, v48, 0xbe11bafb, v101
	v_fmamk_f32 v144, v96, 0xbf75a155, v98
	v_fma_f32 v151, 0x3f575c64, v97, -v125
	v_add_f32_e32 v69, v150, v69
	v_add_f32_e32 v139, v159, v72
	v_dual_mul_f32 v131, 0xbf4178ce, v123 :: v_dual_add_f32 v34, v140, v34
	v_add_f32_e32 v72, v145, v35
	s_delay_alu instid0(VALU_DEP_3) | instskip(NEXT) | instid1(VALU_DEP_3)
	v_dual_add_f32 v70, v151, v70 :: v_dual_add_f32 v35, v161, v139
	v_fmamk_f32 v160, v96, 0xbf27a4f4, v131
	s_delay_alu instid0(VALU_DEP_4) | instskip(NEXT) | instid1(VALU_DEP_1)
	v_add_f32_e32 v34, v142, v34
	v_add_f32_e32 v71, v144, v34
	s_delay_alu instid0(VALU_DEP_3)
	v_add_f32_e32 v34, v160, v138
	s_and_saveexec_b32 s1, s0
	s_cbranch_execz .LBB0_9
; %bb.8:
	v_mul_f32_e32 v172, 0xbe903f40, v108
	v_dual_mul_f32 v138, 0xbf75a155, v39 :: v_dual_mul_f32 v167, 0xbf75a155, v97
	v_mul_f32_e32 v140, 0x3f575c64, v47
	v_dual_mul_f32 v150, 0xbf27a4f4, v43 :: v_dual_mul_f32 v169, 0xbf27a4f4, v49
	s_delay_alu instid0(VALU_DEP_4) | instskip(SKIP_1) | instid1(VALU_DEP_4)
	v_fmamk_f32 v175, v38, 0xbf75a155, v172
	v_dual_mul_f32 v153, 0xbf75a155, v47 :: v_dual_mul_f32 v156, 0xbf75a155, v48
	v_fmamk_f32 v141, v122, 0xbf0a6770, v140
	v_fmac_f32_e32 v140, 0x3f0a6770, v122
	v_fmamk_f32 v139, v117, 0x3e903f40, v138
	v_dual_add_f32 v175, v32, v175 :: v_dual_fmac_f32 v138, 0xbe903f40, v117
	v_fma_f32 v172, 0xbf75a155, v38, -v172
	v_mul_f32_e32 v173, 0x3ed4b147, v51
	v_mul_f32_e32 v177, 0xbe11bafb, v97
	s_delay_alu instid0(VALU_DEP_4) | instskip(NEXT) | instid1(VALU_DEP_4)
	v_dual_mul_f32 v179, 0xbf4178ce, v115 :: v_dual_add_f32 v138, v33, v138
	v_add_f32_e32 v172, v32, v172
	v_mul_f32_e32 v171, 0xbf27a4f4, v96
	v_mul_f32_e32 v117, 0xbf4178ce, v117
	v_dual_mul_f32 v146, 0xbe11bafb, v38 :: v_dual_mul_f32 v147, 0xbe11bafb, v39
	v_add_f32_e32 v138, v140, v138
	v_dual_mul_f32 v166, 0xbf75a155, v96 :: v_dual_add_f32 v139, v33, v139
	v_mul_f32_e32 v168, 0x3f575c64, v96
	v_add_f32_e32 v134, v134, v153
	v_dual_mul_f32 v148, 0x3ed4b147, v43 :: v_dual_mul_f32 v159, 0x3ed4b147, v49
	s_delay_alu instid0(VALU_DEP_4)
	v_add_f32_e32 v139, v141, v139
	v_fmamk_f32 v141, v124, 0x3f4178ce, v169
	v_fmac_f32_e32 v169, 0xbf4178ce, v124
	v_mul_f32_e32 v170, 0x3f575c64, v97
	v_mul_f32_e32 v122, 0x3f7d64f0, v122
	v_dual_mul_f32 v124, 0xbf0a6770, v124 :: v_dual_add_f32 v137, v137, v147
	s_delay_alu instid0(VALU_DEP_4) | instskip(SKIP_3) | instid1(VALU_DEP_4)
	v_dual_add_f32 v169, v169, v138 :: v_dual_mul_f32 v176, 0x3f0a6770, v111
	v_add_f32_e32 v139, v141, v139
	v_fmamk_f32 v141, v127, 0xbf68dda4, v173
	v_dual_mul_f32 v164, 0x3f575c64, v50 :: v_dual_mul_f32 v165, 0x3f575c64, v51
	v_fmamk_f32 v178, v43, 0x3f575c64, v176
	v_dual_mul_f32 v144, 0x3ed4b147, v38 :: v_dual_mul_f32 v145, 0x3ed4b147, v39
	s_delay_alu instid0(VALU_DEP_4) | instskip(SKIP_1) | instid1(VALU_DEP_4)
	v_add_f32_e32 v139, v141, v139
	v_fmamk_f32 v141, v126, 0x3f7d64f0, v177
	v_dual_add_f32 v175, v178, v175 :: v_dual_fmamk_f32 v178, v48, 0xbf27a4f4, v179
	v_mul_f32_e32 v180, 0x3f68dda4, v121
	v_dual_add_f32 v137, v33, v137 :: v_dual_sub_f32 v114, v144, v114
	s_delay_alu instid0(VALU_DEP_4) | instskip(NEXT) | instid1(VALU_DEP_4)
	v_add_f32_e32 v139, v141, v139
	v_add_f32_e32 v141, v178, v175
	s_delay_alu instid0(VALU_DEP_4) | instskip(SKIP_3) | instid1(VALU_DEP_4)
	v_fmamk_f32 v175, v50, 0x3ed4b147, v180
	v_mul_f32_e32 v178, 0xbf7d64f0, v123
	v_dual_add_f32 v136, v136, v165 :: v_dual_mul_f32 v111, 0x3f7d64f0, v111
	v_dual_mul_f32 v115, 0xbf0a6770, v115 :: v_dual_sub_f32 v132, v146, v132
	v_dual_add_f32 v140, v175, v141 :: v_dual_fmac_f32 v173, 0x3f68dda4, v127
	s_delay_alu instid0(VALU_DEP_4) | instskip(SKIP_2) | instid1(VALU_DEP_4)
	v_fmamk_f32 v141, v96, 0xbe11bafb, v178
	v_mul_f32_e32 v127, 0xbe903f40, v127
	v_dual_mul_f32 v161, 0xbf27a4f4, v51 :: v_dual_mul_f32 v174, 0xbf27a4f4, v97
	v_add_f32_e32 v169, v173, v169
	v_fma_f32 v175, 0x3f575c64, v43, -v176
	v_add_f32_e32 v138, v141, v140
	v_fma_f32 v141, 0xbf27a4f4, v48, -v179
	v_fmac_f32_e32 v177, 0xbf7d64f0, v126
	v_dual_mul_f32 v162, 0xbe11bafb, v50 :: v_dual_mul_f32 v163, 0xbe11bafb, v51
	v_add_f32_e32 v140, v175, v172
	v_fmamk_f32 v172, v39, 0xbf27a4f4, v117
	v_mul_f32_e32 v175, 0xbf4178ce, v108
	v_fma_f32 v153, 0x3f575c64, v48, -v115
	v_dual_add_f32 v133, v133, v174 :: v_dual_add_f32 v116, v116, v163
	v_add_f32_e32 v140, v141, v140
	v_add_f32_e32 v141, v177, v169
	v_dual_add_f32 v169, v33, v172 :: v_dual_fmamk_f32 v172, v47, 0xbe11bafb, v122
	v_add_f32_e32 v132, v32, v132
	v_mul_f32_e32 v126, 0x3f68dda4, v126
	v_dual_mul_f32 v152, 0xbf75a155, v43 :: v_dual_mul_f32 v157, 0xbf75a155, v49
	s_delay_alu instid0(VALU_DEP_4) | instskip(SKIP_2) | instid1(VALU_DEP_4)
	v_dual_add_f32 v108, v172, v169 :: v_dual_fmamk_f32 v169, v49, 0x3f575c64, v124
	v_mul_f32_e32 v123, 0x3f68dda4, v123
	v_dual_mul_f32 v151, 0xbf27a4f4, v47 :: v_dual_mul_f32 v160, 0xbf27a4f4, v50
	v_add_f32_e32 v118, v118, v157
	s_delay_alu instid0(VALU_DEP_4) | instskip(SKIP_3) | instid1(VALU_DEP_4)
	v_dual_add_f32 v108, v169, v108 :: v_dual_fmamk_f32 v169, v51, 0xbf75a155, v127
	v_sub_f32_e32 v128, v152, v128
	v_dual_add_f32 v114, v32, v114 :: v_dual_mul_f32 v149, 0x3ed4b147, v47
	v_mul_f32_e32 v158, 0x3ed4b147, v48
	v_dual_add_f32 v108, v169, v108 :: v_dual_mul_f32 v169, 0xbe903f40, v121
	v_dual_add_f32 v121, v134, v137 :: v_dual_add_f32 v134, v135, v159
	v_fma_f32 v172, 0xbf27a4f4, v38, -v175
	v_dual_add_f32 v119, v119, v151 :: v_dual_sub_f32 v112, v156, v112
	s_delay_alu instid0(VALU_DEP_4) | instskip(NEXT) | instid1(VALU_DEP_3)
	v_fma_f32 v137, 0xbf75a155, v50, -v169
	v_dual_add_f32 v134, v134, v121 :: v_dual_add_f32 v147, v32, v172
	v_fma_f32 v172, 0xbe11bafb, v43, -v111
	v_dual_sub_f32 v113, v150, v113 :: v_dual_add_f32 v128, v128, v132
	s_delay_alu instid0(VALU_DEP_3) | instskip(SKIP_1) | instid1(VALU_DEP_4)
	v_add_f32_e32 v134, v136, v134
	v_dual_mul_f32 v142, 0x3f575c64, v38 :: v_dual_mul_f32 v143, 0x3f575c64, v39
	v_add_f32_e32 v147, v172, v147
	v_sub_f32_e32 v129, v158, v129
	v_add_f32_e32 v113, v113, v114
	v_add_f32_e32 v93, v33, v93
	v_dual_add_f32 v107, v107, v143 :: v_dual_sub_f32 v104, v148, v104
	v_add_f32_e32 v135, v153, v147
	v_fmamk_f32 v147, v97, 0x3ed4b147, v126
	v_add_f32_e32 v114, v129, v128
	v_dual_add_f32 v112, v112, v113 :: v_dual_sub_f32 v113, v162, v110
	s_delay_alu instid0(VALU_DEP_4) | instskip(SKIP_3) | instid1(VALU_DEP_3)
	v_add_f32_e32 v135, v137, v135
	v_fma_f32 v137, 0x3ed4b147, v96, -v123
	v_dual_add_f32 v121, v147, v108 :: v_dual_add_f32 v108, v120, v145
	v_dual_sub_f32 v105, v142, v105 :: v_dual_add_f32 v92, v93, v92
	v_add_f32_e32 v120, v137, v135
	v_add_f32_e32 v93, v32, v95
	s_delay_alu instid0(VALU_DEP_4) | instskip(SKIP_3) | instid1(VALU_DEP_4)
	v_add_f32_e32 v135, v33, v108
	v_add_f32_e32 v112, v113, v112
	v_dual_add_f32 v107, v33, v107 :: v_dual_add_f32 v106, v106, v149
	v_add_f32_e32 v105, v32, v105
	v_add_f32_e32 v119, v119, v135
	v_dual_add_f32 v91, v92, v91 :: v_dual_add_f32 v92, v93, v94
	v_add_f32_e32 v94, v102, v161
	v_dual_sub_f32 v109, v168, v109 :: v_dual_add_f32 v106, v106, v107
	s_delay_alu instid0(VALU_DEP_4) | instskip(NEXT) | instid1(VALU_DEP_2)
	v_dual_add_f32 v118, v118, v119 :: v_dual_sub_f32 v119, v164, v130
	v_dual_add_f32 v46, v92, v46 :: v_dual_add_f32 v109, v109, v112
	v_dual_mul_f32 v154, 0xbe11bafb, v48 :: v_dual_mul_f32 v155, 0xbe11bafb, v49
	s_delay_alu instid0(VALU_DEP_3) | instskip(NEXT) | instid1(VALU_DEP_3)
	v_add_f32_e32 v114, v119, v114
	v_dual_sub_f32 v119, v171, v131 :: v_dual_add_f32 v46, v46, v45
	v_fma_f32 v39, 0xbf27a4f4, v39, -v117
	s_delay_alu instid0(VALU_DEP_4) | instskip(SKIP_1) | instid1(VALU_DEP_4)
	v_add_f32_e32 v95, v103, v155
	v_fmac_f32_e32 v123, 0x3ed4b147, v96
	v_dual_fmac_f32 v169, 0xbf75a155, v50 :: v_dual_add_f32 v46, v46, v44
	v_dual_add_f32 v90, v91, v90 :: v_dual_sub_f32 v91, v160, v99
	v_fmac_f32_e32 v111, 0xbe11bafb, v43
	s_delay_alu instid0(VALU_DEP_3) | instskip(SKIP_3) | instid1(VALU_DEP_4)
	v_dual_fmac_f32 v115, 0x3f575c64, v48 :: v_dual_add_f32 v42, v46, v42
	v_add_f32_e32 v103, v104, v105
	v_fma_f32 v173, 0x3ed4b147, v50, -v180
	v_add_f32_e32 v116, v116, v118
	v_dual_add_f32 v118, v125, v170 :: v_dual_add_f32 v41, v42, v41
	s_delay_alu instid0(VALU_DEP_3) | instskip(SKIP_1) | instid1(VALU_DEP_3)
	v_dual_fmac_f32 v175, 0xbf27a4f4, v38 :: v_dual_add_f32 v140, v173, v140
	v_fma_f32 v173, 0xbe11bafb, v96, -v178
	v_add_f32_e32 v110, v118, v116
	s_delay_alu instid0(VALU_DEP_4) | instskip(NEXT) | instid1(VALU_DEP_4)
	v_dual_add_f32 v40, v41, v40 :: v_dual_add_f32 v89, v90, v89
	v_dual_add_f32 v32, v32, v175 :: v_dual_sub_f32 v101, v154, v101
	v_fma_f32 v41, 0xbf75a155, v51, -v127
	s_delay_alu instid0(VALU_DEP_3) | instskip(SKIP_1) | instid1(VALU_DEP_4)
	v_dual_add_f32 v37, v40, v37 :: v_dual_add_f32 v88, v89, v88
	v_add_f32_e32 v93, v95, v106
	v_dual_add_f32 v95, v101, v103 :: v_dual_add_f32 v32, v111, v32
	v_add_f32_e32 v33, v33, v39
	s_delay_alu instid0(VALU_DEP_4) | instskip(SKIP_1) | instid1(VALU_DEP_4)
	v_add_f32_e32 v38, v88, v87
	v_fma_f32 v39, 0xbe11bafb, v47, -v122
	v_add_f32_e32 v90, v91, v95
	v_dual_add_f32 v32, v115, v32 :: v_dual_sub_f32 v91, v166, v98
	v_dual_add_f32 v92, v94, v93 :: v_dual_add_f32 v93, v100, v167
	s_delay_alu instid0(VALU_DEP_4) | instskip(SKIP_1) | instid1(VALU_DEP_4)
	v_dual_add_f32 v38, v38, v86 :: v_dual_add_f32 v33, v39, v33
	v_fma_f32 v39, 0x3f575c64, v49, -v124
	v_add_f32_e32 v40, v169, v32
	s_delay_alu instid0(VALU_DEP_3) | instskip(NEXT) | instid1(VALU_DEP_3)
	v_dual_add_f32 v45, v93, v92 :: v_dual_add_f32 v38, v38, v85
	v_dual_add_f32 v32, v37, v36 :: v_dual_add_f32 v39, v39, v33
	v_add_f32_e32 v44, v91, v90
	s_delay_alu instid0(VALU_DEP_3) | instskip(NEXT) | instid1(VALU_DEP_3)
	v_dual_add_f32 v108, v133, v134 :: v_dual_add_f32 v33, v38, v84
	v_dual_add_f32 v107, v119, v114 :: v_dual_add_f32 v38, v41, v39
	v_fma_f32 v39, 0x3ed4b147, v97, -v126
	v_lshl_add_u32 v41, v75, 3, v77
	v_add_f32_e32 v140, v173, v140
	v_add_f32_e32 v36, v123, v40
	s_delay_alu instid0(VALU_DEP_4)
	v_add_f32_e32 v37, v39, v38
	ds_store_b64 v76, v[32:33]
	ds_store_2addr_b64 v41, v[44:45], v[109:110] offset0:24 offset1:48
	ds_store_2addr_b64 v41, v[107:108], v[120:121] offset0:72 offset1:96
	;; [unrolled: 1-line block ×5, first 2 shown]
.LBB0_9:
	s_wait_alu 0xfffe
	s_or_b32 exec_lo, exec_lo, s1
	s_add_nc_u64 s[8:9], s[8:9], 0x840
	global_wb scope:SCOPE_SE
	s_wait_dscnt 0x0
	s_barrier_signal -1
	s_barrier_wait -1
	global_inv scope:SCOPE_SE
	s_clause 0x7
	global_load_b64 v[32:33], v[73:74], off offset:2112
	global_load_b64 v[48:49], v78, s[8:9] offset:264
	global_load_b64 v[50:51], v78, s[8:9] offset:528
	;; [unrolled: 1-line block ×7, first 2 shown]
	v_lshl_add_u32 v73, v75, 3, v77
	ds_load_2addr_b64 v[36:39], v76 offset1:33
	ds_load_b64 v[94:95], v73 offset:528
	ds_load_2addr_b64 v[40:43], v76 offset0:99 offset1:132
	ds_load_2addr_b64 v[44:47], v76 offset0:165 offset1:198
	ds_load_b64 v[96:97], v76 offset:1848
	s_wait_loadcnt_dscnt 0x704
	v_mul_f32_e32 v74, v37, v33
	s_wait_loadcnt_dscnt 0x503
	v_dual_mul_f32 v99, v36, v33 :: v_dual_mul_f32 v100, v95, v51
	v_mul_f32_e32 v78, v39, v49
	s_wait_loadcnt_dscnt 0x302
	v_dual_mul_f32 v33, v38, v49 :: v_dual_mul_f32 v102, v43, v87
	;; [unrolled: 3-line block ×3, first 2 shown]
	v_mul_f32_e32 v51, v40, v85
	v_mul_f32_e32 v85, v42, v87
	;; [unrolled: 1-line block ×5, first 2 shown]
	s_wait_loadcnt_dscnt 0x0
	v_mul_f32_e32 v105, v97, v93
	v_mul_f32_e32 v91, v96, v93
	v_fma_f32 v98, v36, v32, -v74
	v_fmac_f32_e32 v99, v37, v32
	v_fma_f32 v32, v38, v48, -v78
	v_fmac_f32_e32 v33, v39, v48
	;; [unrolled: 2-line block ×8, first 2 shown]
	ds_store_2addr_b64 v76, v[98:99], v[32:33] offset1:33
	ds_store_2addr_b64 v76, v[50:51], v[84:85] offset0:99 offset1:132
	ds_store_2addr_b64 v76, v[86:87], v[88:89] offset0:165 offset1:198
	ds_store_b64 v73, v[48:49] offset:528
	ds_store_b64 v76, v[90:91] offset:1848
	global_wb scope:SCOPE_SE
	s_wait_dscnt 0x0
	s_barrier_signal -1
	s_barrier_wait -1
	global_inv scope:SCOPE_SE
	ds_load_2addr_b64 v[36:39], v76 offset1:33
	ds_load_2addr_b64 v[40:43], v76 offset0:99 offset1:132
	ds_load_2addr_b64 v[44:47], v76 offset0:165 offset1:198
	ds_load_b64 v[32:33], v73 offset:528
	ds_load_b64 v[48:49], v76 offset:1848
	global_wb scope:SCOPE_SE
	s_wait_dscnt 0x0
	s_barrier_signal -1
	s_barrier_wait -1
	global_inv scope:SCOPE_SE
	v_sub_f32_e32 v42, v36, v42
	v_sub_f32_e32 v44, v38, v44
	v_dual_sub_f32 v46, v32, v46 :: v_dual_sub_f32 v49, v41, v49
	v_sub_f32_e32 v45, v39, v45
	s_delay_alu instid0(VALU_DEP_4) | instskip(SKIP_1) | instid1(VALU_DEP_4)
	v_fma_f32 v36, v36, 2.0, -v42
	v_sub_f32_e32 v48, v40, v48
	v_fma_f32 v32, v32, 2.0, -v46
	v_fma_f32 v38, v38, 2.0, -v44
	;; [unrolled: 1-line block ×5, first 2 shown]
	v_sub_f32_e32 v32, v36, v32
	v_sub_f32_e32 v48, v45, v48
	s_delay_alu instid0(VALU_DEP_2) | instskip(SKIP_1) | instid1(VALU_DEP_3)
	v_fma_f32 v78, v36, 2.0, -v32
	v_sub_f32_e32 v47, v33, v47
	v_fma_f32 v45, v45, 2.0, -v48
	s_delay_alu instid0(VALU_DEP_2) | instskip(SKIP_2) | instid1(VALU_DEP_2)
	v_fma_f32 v33, v33, 2.0, -v47
	v_add_f32_e32 v47, v42, v47
	v_sub_f32_e32 v43, v37, v43
	v_fma_f32 v50, v42, 2.0, -v47
	s_delay_alu instid0(VALU_DEP_2) | instskip(SKIP_2) | instid1(VALU_DEP_2)
	v_sub_f32_e32 v74, v43, v46
	v_dual_add_f32 v46, v44, v49 :: v_dual_sub_f32 v49, v38, v40
	v_sub_f32_e32 v40, v39, v41
	v_fmamk_f32 v42, v46, 0x3f3504f3, v47
	v_fma_f32 v37, v37, 2.0, -v43
	v_fma_f32 v51, v43, 2.0, -v74
	;; [unrolled: 1-line block ×4, first 2 shown]
	v_fmamk_f32 v43, v48, 0x3f3504f3, v74
	v_dual_sub_f32 v33, v37, v33 :: v_dual_fmac_f32 v42, 0x3f3504f3, v48
	s_delay_alu instid0(VALU_DEP_4) | instskip(NEXT) | instid1(VALU_DEP_3)
	v_fmamk_f32 v38, v44, 0xbf3504f3, v50
	v_dual_sub_f32 v36, v78, v36 :: v_dual_fmac_f32 v43, 0xbf3504f3, v46
	s_delay_alu instid0(VALU_DEP_3) | instskip(SKIP_4) | instid1(VALU_DEP_4)
	v_fma_f32 v84, v37, 2.0, -v33
	v_fma_f32 v37, v39, 2.0, -v40
	v_fmamk_f32 v39, v45, 0xbf3504f3, v51
	v_fmac_f32_e32 v38, 0x3f3504f3, v45
	v_dual_add_f32 v40, v32, v40 :: v_dual_sub_f32 v41, v33, v49
	v_sub_f32_e32 v37, v84, v37
	s_delay_alu instid0(VALU_DEP_4)
	v_fmac_f32_e32 v39, 0xbf3504f3, v44
	v_fma_f32 v48, v78, 2.0, -v36
	v_fma_f32 v50, v50, 2.0, -v38
	v_fma_f32 v44, v32, 2.0, -v40
	v_fma_f32 v49, v84, 2.0, -v37
	v_fma_f32 v51, v51, 2.0, -v39
	v_fma_f32 v45, v33, 2.0, -v41
	v_fma_f32 v46, v47, 2.0, -v42
	v_fma_f32 v47, v74, 2.0, -v43
	ds_store_b128 v80, v[36:39] offset:32
	ds_store_b128 v80, v[40:43] offset:48
	ds_store_b128 v80, v[48:51]
	ds_store_b128 v80, v[44:47] offset:16
	global_wb scope:SCOPE_SE
	s_wait_dscnt 0x0
	s_barrier_signal -1
	s_barrier_wait -1
	global_inv scope:SCOPE_SE
	ds_load_2addr_b64 v[36:39], v76 offset1:33
	ds_load_2addr_b64 v[48:51], v76 offset0:88 offset1:121
	ds_load_2addr_b64 v[44:47], v76 offset0:176 offset1:209
	s_and_saveexec_b32 s1, vcc_lo
	s_cbranch_execz .LBB0_11
; %bb.10:
	ds_load_2addr_b64 v[32:35], v76 offset0:154 offset1:242
	ds_load_b64 v[40:41], v73 offset:528
	s_wait_dscnt 0x1
	v_dual_mov_b32 v42, v32 :: v_dual_mov_b32 v43, v33
.LBB0_11:
	s_wait_alu 0xfffe
	s_or_b32 exec_lo, exec_lo, s1
	s_wait_dscnt 0x1
	v_mul_f32_e32 v32, v17, v49
	v_mul_f32_e32 v17, v17, v48
	s_wait_dscnt 0x0
	v_mul_f32_e32 v33, v19, v45
	v_mul_f32_e32 v19, v19, v44
	global_wb scope:SCOPE_SE
	v_fmac_f32_e32 v32, v16, v48
	v_dual_mul_f32 v48, v21, v51 :: v_dual_fmac_f32 v33, v18, v44
	v_fma_f32 v18, v18, v45, -v19
	s_barrier_signal -1
	s_delay_alu instid0(VALU_DEP_2)
	v_dual_mul_f32 v19, v23, v47 :: v_dual_fmac_f32 v48, v20, v50
	v_fma_f32 v17, v16, v49, -v17
	v_mul_f32_e32 v16, v21, v50
	v_mul_f32_e32 v21, v23, v46
	;; [unrolled: 1-line block ×4, first 2 shown]
	v_fmac_f32_e32 v19, v22, v46
	v_fma_f32 v20, v20, v51, -v16
	s_barrier_wait -1
	v_fmac_f32_e32 v23, v4, v42
	v_fma_f32 v42, v4, v43, -v5
	v_add_f32_e32 v4, v32, v33
	v_fma_f32 v21, v22, v47, -v21
	v_mul_f32_e32 v22, v7, v35
	v_mul_f32_e32 v7, v7, v34
	v_add_f32_e32 v5, v36, v32
	v_fma_f32 v16, -0.5, v4, v36
	v_sub_f32_e32 v32, v32, v33
	v_fmac_f32_e32 v22, v6, v34
	v_fma_f32 v34, v6, v35, -v7
	v_add_f32_e32 v6, v17, v18
	v_sub_f32_e32 v7, v17, v18
	v_add_f32_e32 v4, v5, v33
	v_add_f32_e32 v5, v37, v17
	v_add_f32_e32 v33, v38, v48
	v_fma_f32 v17, -0.5, v6, v37
	v_fmamk_f32 v6, v7, 0xbf5db3d7, v16
	s_delay_alu instid0(VALU_DEP_4) | instskip(SKIP_1) | instid1(VALU_DEP_4)
	v_dual_fmac_f32 v16, 0x3f5db3d7, v7 :: v_dual_add_f32 v5, v5, v18
	v_add_f32_e32 v18, v48, v19
	v_fmamk_f32 v7, v32, 0x3f5db3d7, v17
	v_sub_f32_e32 v35, v20, v21
	global_inv scope:SCOPE_SE
	v_fma_f32 v38, -0.5, v18, v38
	v_dual_fmac_f32 v17, 0xbf5db3d7, v32 :: v_dual_add_f32 v32, v20, v21
	v_add_f32_e32 v20, v39, v20
	s_delay_alu instid0(VALU_DEP_3) | instskip(NEXT) | instid1(VALU_DEP_3)
	v_fmamk_f32 v36, v35, 0xbf5db3d7, v38
	v_dual_fmac_f32 v38, 0x3f5db3d7, v35 :: v_dual_fmac_f32 v39, -0.5, v32
	v_sub_f32_e32 v32, v48, v19
	s_delay_alu instid0(VALU_DEP_4) | instskip(SKIP_2) | instid1(VALU_DEP_4)
	v_dual_add_f32 v18, v33, v19 :: v_dual_add_f32 v19, v20, v21
	v_add_f32_e32 v20, v23, v22
	v_add_f32_e32 v21, v42, v34
	v_fmamk_f32 v37, v32, 0x3f5db3d7, v39
	v_fmac_f32_e32 v39, 0xbf5db3d7, v32
	v_add_f32_e32 v32, v23, v40
	v_dual_fmac_f32 v40, -0.5, v20 :: v_dual_sub_f32 v33, v42, v34
	v_add_f32_e32 v35, v42, v41
	v_dual_fmac_f32 v41, -0.5, v21 :: v_dual_sub_f32 v42, v23, v22
	s_delay_alu instid0(VALU_DEP_4) | instskip(NEXT) | instid1(VALU_DEP_4)
	v_add_f32_e32 v20, v32, v22
	v_fmamk_f32 v22, v33, 0xbf5db3d7, v40
	s_delay_alu instid0(VALU_DEP_4) | instskip(NEXT) | instid1(VALU_DEP_4)
	v_dual_fmac_f32 v40, 0x3f5db3d7, v33 :: v_dual_add_f32 v21, v34, v35
	v_fmamk_f32 v23, v42, 0x3f5db3d7, v41
	v_fmac_f32_e32 v41, 0xbf5db3d7, v42
	ds_store_2addr_b64 v83, v[4:5], v[6:7] offset1:8
	ds_store_b64 v83, v[16:17] offset:128
	ds_store_2addr_b64 v82, v[18:19], v[36:37] offset1:8
	ds_store_b64 v82, v[38:39] offset:128
	s_and_saveexec_b32 s1, vcc_lo
	s_cbranch_execz .LBB0_13
; %bb.12:
	v_mul_u32_u24_e32 v32, 24, v81
	s_delay_alu instid0(VALU_DEP_1) | instskip(NEXT) | instid1(VALU_DEP_1)
	v_or_b32_e32 v32, v32, v79
	v_lshl_add_u32 v32, v32, 3, v77
	ds_store_2addr_b64 v32, v[20:21], v[22:23] offset1:8
	ds_store_b64 v32, v[40:41] offset:128
.LBB0_13:
	s_wait_alu 0xfffe
	s_or_b32 exec_lo, exec_lo, s1
	global_wb scope:SCOPE_SE
	s_wait_dscnt 0x0
	s_barrier_signal -1
	s_barrier_wait -1
	global_inv scope:SCOPE_SE
	s_and_saveexec_b32 s1, s0
	s_cbranch_execz .LBB0_15
; %bb.14:
	ds_load_2addr_b64 v[40:43], v76 offset0:192 offset1:216
	ds_load_2addr_b64 v[4:7], v76 offset1:24
	ds_load_2addr_b64 v[16:19], v76 offset0:48 offset1:72
	ds_load_2addr_b64 v[36:39], v76 offset0:96 offset1:120
	;; [unrolled: 1-line block ×3, first 2 shown]
	ds_load_b64 v[71:72], v76 offset:1920
	s_wait_dscnt 0x5
	v_dual_mov_b32 v69, v42 :: v_dual_mov_b32 v70, v43
.LBB0_15:
	s_wait_alu 0xfffe
	s_or_b32 exec_lo, exec_lo, s1
	s_and_saveexec_b32 s1, s0
	s_cbranch_execz .LBB0_17
; %bb.16:
	s_wait_dscnt 0x0
	v_dual_mul_f32 v32, v25, v7 :: v_dual_mul_f32 v33, v31, v72
	v_mul_f32_e32 v31, v31, v71
	v_dual_mul_f32 v25, v25, v6 :: v_dual_mul_f32 v34, v27, v17
	s_delay_alu instid0(VALU_DEP_3) | instskip(SKIP_1) | instid1(VALU_DEP_4)
	v_dual_fmac_f32 v32, v24, v6 :: v_dual_fmac_f32 v33, v30, v71
	v_mul_f32_e32 v35, v29, v70
	v_fma_f32 v30, v30, v72, -v31
	s_delay_alu instid0(VALU_DEP_4)
	v_fmac_f32_e32 v34, v26, v16
	v_fma_f32 v24, v24, v7, -v25
	v_mul_f32_e32 v16, v27, v16
	v_mul_f32_e32 v42, v15, v41
	v_fmac_f32_e32 v35, v28, v69
	v_mul_f32_e32 v15, v15, v40
	s_delay_alu instid0(VALU_DEP_4) | instskip(SKIP_4) | instid1(VALU_DEP_4)
	v_fma_f32 v16, v26, v17, -v16
	v_mul_f32_e32 v7, v29, v69
	v_add_f32_e32 v29, v30, v24
	v_dual_fmac_f32 v42, v14, v40 :: v_dual_sub_f32 v25, v32, v33
	v_sub_f32_e32 v6, v34, v35
	v_fma_f32 v28, v28, v70, -v7
	v_mul_f32_e32 v40, v13, v23
	v_mul_f32_e32 v31, v9, v19
	;; [unrolled: 1-line block ×3, first 2 shown]
	s_delay_alu instid0(VALU_DEP_4) | instskip(SKIP_1) | instid1(VALU_DEP_3)
	v_dual_mul_f32 v9, v9, v18 :: v_dual_add_f32 v26, v28, v16
	v_fma_f32 v15, v14, v41, -v15
	v_dual_fmac_f32 v40, v12, v22 :: v_dual_fmamk_f32 v7, v29, 0xbf75a155, v27
	v_dual_fmac_f32 v31, v8, v18 :: v_dual_mul_f32 v18, v11, v37
	v_mul_f32_e32 v17, 0x3f0a6770, v6
	v_mul_f32_e32 v41, v3, v21
	;; [unrolled: 1-line block ×3, first 2 shown]
	v_fma_f32 v14, v8, v19, -v9
	v_fmac_f32_e32 v18, v10, v36
	v_dual_fmamk_f32 v43, v26, 0x3f575c64, v17 :: v_dual_mul_f32 v8, v13, v22
	s_delay_alu instid0(VALU_DEP_4)
	v_fma_f32 v21, v2, v21, -v3
	v_mul_f32_e32 v9, v11, v36
	v_fma_f32 v17, 0x3f575c64, v26, -v17
	v_add_f32_e32 v46, v35, v34
	v_fma_f32 v22, v12, v23, -v8
	v_sub_f32_e32 v47, v14, v15
	v_fma_f32 v23, v10, v37, -v9
	v_mul_f32_e32 v37, v1, v39
	v_mul_f32_e32 v1, v1, v38
	s_delay_alu instid0(VALU_DEP_4) | instskip(NEXT) | instid1(VALU_DEP_4)
	v_dual_sub_f32 v19, v18, v40 :: v_dual_mul_f32 v10, 0xbf4178ce, v47
	v_add_f32_e32 v36, v22, v23
	v_dual_add_f32 v7, v5, v7 :: v_dual_sub_f32 v44, v31, v42
	s_delay_alu instid0(VALU_DEP_4) | instskip(NEXT) | instid1(VALU_DEP_4)
	v_fma_f32 v39, v0, v39, -v1
	v_mul_f32_e32 v9, 0x3f68dda4, v19
	v_fmac_f32_e32 v37, v0, v38
	s_delay_alu instid0(VALU_DEP_4)
	v_dual_add_f32 v7, v43, v7 :: v_dual_add_f32 v38, v33, v32
	v_mul_f32_e32 v11, 0xbf4178ce, v44
	v_dual_sub_f32 v43, v24, v30 :: v_dual_sub_f32 v70, v39, v21
	v_fmac_f32_e32 v41, v2, v20
	v_dual_sub_f32 v20, v16, v28 :: v_dual_add_f32 v13, v15, v14
	v_dual_add_f32 v49, v42, v31 :: v_dual_sub_f32 v50, v23, v22
	s_delay_alu instid0(VALU_DEP_4) | instskip(NEXT) | instid1(VALU_DEP_3)
	v_mul_f32_e32 v72, 0xbf7d64f0, v70
	v_mul_f32_e32 v2, 0x3f0a6770, v20
	s_delay_alu instid0(VALU_DEP_4) | instskip(NEXT) | instid1(VALU_DEP_4)
	v_fmamk_f32 v8, v13, 0xbf27a4f4, v11
	v_dual_add_f32 v48, v21, v39 :: v_dual_mul_f32 v69, 0x3f68dda4, v50
	v_mul_f32_e32 v82, 0xbe903f40, v50
	s_delay_alu instid0(VALU_DEP_4) | instskip(NEXT) | instid1(VALU_DEP_4)
	v_fma_f32 v1, 0x3f575c64, v46, -v2
	v_add_f32_e32 v7, v8, v7
	v_fmamk_f32 v8, v36, 0x3ed4b147, v9
	v_fmac_f32_e32 v2, 0x3f575c64, v46
	v_add_f32_e32 v51, v40, v18
	v_fma_f32 v11, 0xbf27a4f4, v13, -v11
	v_fma_f32 v9, 0x3ed4b147, v36, -v9
	v_add_f32_e32 v7, v8, v7
	v_mul_f32_e32 v8, 0xbe903f40, v43
	v_mul_f32_e32 v92, 0xbf0a6770, v50
	v_dual_mul_f32 v79, 0xbe11bafb, v29 :: v_dual_mul_f32 v96, 0xbe11bafb, v36
	v_mul_f32_e32 v91, 0xbf27a4f4, v26
	s_delay_alu instid0(VALU_DEP_4) | instskip(SKIP_3) | instid1(VALU_DEP_4)
	v_fma_f32 v0, 0xbf75a155, v38, -v8
	v_fmac_f32_e32 v8, 0xbf75a155, v38
	v_mul_f32_e32 v95, 0xbf4178ce, v70
	v_mul_f32_e32 v97, 0xbf68dda4, v43
	v_dual_mul_f32 v89, 0x3ed4b147, v29 :: v_dual_add_f32 v0, v4, v0
	s_delay_alu instid0(VALU_DEP_4)
	v_add_f32_e32 v8, v4, v8
	v_mul_f32_e32 v99, 0xbf4178ce, v20
	v_mul_f32_e32 v78, 0x3ed4b147, v48
	;; [unrolled: 1-line block ×3, first 2 shown]
	v_add_f32_e32 v0, v1, v0
	v_fma_f32 v1, 0xbf75a155, v29, -v27
	v_fma_f32 v27, 0xbf27a4f4, v49, -v10
	v_add_f32_e32 v2, v2, v8
	v_mul_f32_e32 v77, 0xbf75a155, v36
	v_mul_f32_e32 v85, 0x3f575c64, v36
	s_delay_alu instid0(VALU_DEP_4) | instskip(SKIP_4) | instid1(VALU_DEP_3)
	v_dual_add_f32 v1, v5, v1 :: v_dual_add_f32 v0, v27, v0
	v_fma_f32 v27, 0x3ed4b147, v51, -v69
	v_dual_sub_f32 v45, v37, v41 :: v_dual_mul_f32 v36, 0xbf27a4f4, v36
	v_fmamk_f32 v101, v46, 0xbf27a4f4, v99
	v_mul_f32_e32 v80, 0xbf0a6770, v47
	v_dual_add_f32 v0, v27, v0 :: v_dual_mul_f32 v3, 0xbf7d64f0, v45
	v_mul_f32_e32 v27, 0xbe11bafb, v26
	v_mul_f32_e32 v84, 0x3f68dda4, v70
	;; [unrolled: 1-line block ×4, first 2 shown]
	v_fmamk_f32 v12, v48, 0xbe11bafb, v3
	v_fma_f32 v3, 0xbe11bafb, v48, -v3
	v_mul_f32_e32 v74, 0x3f575c64, v13
	v_add_f32_e32 v71, v41, v37
	v_add_f32_e32 v17, v17, v1
	v_dual_add_f32 v1, v12, v7 :: v_dual_fmamk_f32 v12, v19, 0x3f0a6770, v85
	v_add_f32_e32 v24, v24, v5
	s_delay_alu instid0(VALU_DEP_4) | instskip(SKIP_2) | instid1(VALU_DEP_4)
	v_fma_f32 v7, 0xbe11bafb, v71, -v72
	v_mul_f32_e32 v90, 0x3f68dda4, v47
	v_fmamk_f32 v93, v6, 0x3f4178ce, v91
	v_dual_fmac_f32 v91, 0xbf4178ce, v6 :: v_dual_add_f32 v16, v16, v24
	s_delay_alu instid0(VALU_DEP_4)
	v_add_f32_e32 v0, v7, v0
	v_fmac_f32_e32 v10, 0xbf27a4f4, v49
	v_add_f32_e32 v24, v4, v32
	v_mul_f32_e32 v94, 0xbf75a155, v13
	v_mul_f32_e32 v98, 0x3f575c64, v48
	;; [unrolled: 1-line block ×3, first 2 shown]
	v_dual_add_f32 v2, v10, v2 :: v_dual_add_f32 v11, v11, v17
	v_mul_f32_e32 v17, 0xbf27a4f4, v29
	v_mul_f32_e32 v29, 0x3f575c64, v29
	;; [unrolled: 1-line block ×3, first 2 shown]
	s_delay_alu instid0(VALU_DEP_4) | instskip(NEXT) | instid1(VALU_DEP_4)
	v_dual_fmamk_f32 v32, v19, 0x3f4178ce, v36 :: v_dual_add_f32 v7, v9, v11
	v_fmamk_f32 v9, v25, 0x3f4178ce, v17
	v_fmamk_f32 v11, v6, 0xbe903f40, v81
	s_delay_alu instid0(VALU_DEP_4) | instskip(NEXT) | instid1(VALU_DEP_4)
	v_fmamk_f32 v103, v6, 0x3f68dda4, v26
	v_dual_mul_f32 v104, 0xbe11bafb, v13 :: v_dual_add_f32 v3, v3, v7
	s_delay_alu instid0(VALU_DEP_4) | instskip(SKIP_2) | instid1(VALU_DEP_3)
	v_dual_add_f32 v8, v5, v9 :: v_dual_fmamk_f32 v9, v6, 0xbf7d64f0, v27
	v_fmac_f32_e32 v69, 0x3ed4b147, v51
	v_fmac_f32_e32 v36, 0xbf4178ce, v19
	v_dual_fmac_f32 v26, 0xbf68dda4, v6 :: v_dual_add_f32 v7, v9, v8
	v_fmamk_f32 v8, v44, 0x3f0a6770, v74
	s_delay_alu instid0(VALU_DEP_4) | instskip(SKIP_4) | instid1(VALU_DEP_4)
	v_add_f32_e32 v2, v69, v2
	v_fmac_f32_e32 v72, 0xbe11bafb, v71
	v_mul_f32_e32 v69, 0xbf4178ce, v43
	v_mul_f32_e32 v83, 0x3ed4b147, v13
	v_add_f32_e32 v7, v8, v7
	v_dual_mul_f32 v87, 0xbf27a4f4, v48 :: v_dual_add_f32 v2, v72, v2
	s_delay_alu instid0(VALU_DEP_4) | instskip(SKIP_3) | instid1(VALU_DEP_4)
	v_fmamk_f32 v9, v38, 0xbf27a4f4, v69
	v_mul_f32_e32 v72, 0x3f7d64f0, v20
	v_mul_f32_e32 v43, 0xbf0a6770, v43
	v_fmac_f32_e32 v17, 0xbf4178ce, v25
	v_dual_fmac_f32 v74, 0xbf0a6770, v44 :: v_dual_add_f32 v9, v4, v9
	s_delay_alu instid0(VALU_DEP_4) | instskip(SKIP_1) | instid1(VALU_DEP_4)
	v_fmamk_f32 v10, v46, 0xbe11bafb, v72
	v_fmac_f32_e32 v27, 0x3f7d64f0, v6
	v_add_f32_e32 v17, v5, v17
	s_delay_alu instid0(VALU_DEP_3) | instskip(NEXT) | instid1(VALU_DEP_2)
	v_dual_add_f32 v9, v10, v9 :: v_dual_fmamk_f32 v10, v49, 0x3f575c64, v80
	v_add_f32_e32 v17, v27, v17
	v_fma_f32 v27, 0xbe11bafb, v38, -v86
	s_delay_alu instid0(VALU_DEP_3) | instskip(NEXT) | instid1(VALU_DEP_3)
	v_dual_add_f32 v9, v10, v9 :: v_dual_fmamk_f32 v10, v51, 0xbf75a155, v82
	v_dual_fmamk_f32 v8, v19, 0x3e903f40, v77 :: v_dual_add_f32 v17, v74, v17
	v_fmac_f32_e32 v77, 0xbe903f40, v19
	s_delay_alu instid0(VALU_DEP_3) | instskip(NEXT) | instid1(VALU_DEP_3)
	v_add_f32_e32 v9, v10, v9
	v_dual_add_f32 v7, v8, v7 :: v_dual_fmamk_f32 v8, v45, 0xbf68dda4, v78
	v_fmamk_f32 v10, v71, 0x3ed4b147, v84
	v_fmac_f32_e32 v78, 0x3f68dda4, v45
	s_delay_alu instid0(VALU_DEP_3) | instskip(SKIP_2) | instid1(VALU_DEP_2)
	v_dual_add_f32 v17, v77, v17 :: v_dual_add_f32 v8, v8, v7
	v_fmamk_f32 v7, v25, 0x3f7d64f0, v79
	v_fmac_f32_e32 v79, 0xbf7d64f0, v25
	v_add_f32_e32 v7, v5, v7
	s_delay_alu instid0(VALU_DEP_1) | instskip(SKIP_2) | instid1(VALU_DEP_2)
	v_add_f32_e32 v7, v11, v7
	v_fmamk_f32 v11, v44, 0xbf68dda4, v83
	v_fmac_f32_e32 v83, 0x3f68dda4, v44
	v_add_f32_e32 v11, v11, v7
	v_add_f32_e32 v7, v10, v9
	s_delay_alu instid0(VALU_DEP_2) | instskip(NEXT) | instid1(VALU_DEP_1)
	v_dual_fmamk_f32 v9, v38, 0xbe11bafb, v86 :: v_dual_add_f32 v10, v12, v11
	v_dual_fmamk_f32 v12, v46, 0xbf75a155, v88 :: v_dual_add_f32 v9, v4, v9
	v_fmac_f32_e32 v81, 0x3e903f40, v6
	s_delay_alu instid0(VALU_DEP_2) | instskip(NEXT) | instid1(VALU_DEP_1)
	v_dual_add_f32 v9, v12, v9 :: v_dual_fmamk_f32 v12, v49, 0x3ed4b147, v90
	v_dual_add_f32 v9, v12, v9 :: v_dual_fmamk_f32 v12, v51, 0x3f575c64, v92
	v_fmac_f32_e32 v85, 0xbf0a6770, v19
	s_delay_alu instid0(VALU_DEP_2) | instskip(SKIP_2) | instid1(VALU_DEP_2)
	v_dual_add_f32 v9, v12, v9 :: v_dual_fmamk_f32 v12, v71, 0xbf27a4f4, v95
	v_fmamk_f32 v11, v45, 0x3f4178ce, v87
	v_fmac_f32_e32 v87, 0xbf4178ce, v45
	v_dual_add_f32 v9, v12, v9 :: v_dual_add_f32 v10, v11, v10
	v_fmamk_f32 v12, v38, 0x3ed4b147, v97
	v_fmamk_f32 v11, v25, 0x3f68dda4, v89
	s_delay_alu instid0(VALU_DEP_2) | instskip(NEXT) | instid1(VALU_DEP_2)
	v_dual_fmac_f32 v89, 0xbf68dda4, v25 :: v_dual_add_f32 v100, v4, v12
	v_add_f32_e32 v11, v5, v11
	s_delay_alu instid0(VALU_DEP_1) | instskip(SKIP_1) | instid1(VALU_DEP_1)
	v_add_f32_e32 v11, v93, v11
	v_fmamk_f32 v93, v44, 0xbe903f40, v94
	v_dual_fmac_f32 v94, 0x3e903f40, v44 :: v_dual_add_f32 v11, v93, v11
	v_fmamk_f32 v93, v19, 0xbf7d64f0, v96
	v_fmac_f32_e32 v96, 0x3f7d64f0, v19
	s_delay_alu instid0(VALU_DEP_2) | instskip(SKIP_2) | instid1(VALU_DEP_2)
	v_add_f32_e32 v11, v93, v11
	v_fmamk_f32 v93, v45, 0xbf0a6770, v98
	v_fmac_f32_e32 v98, 0x3f0a6770, v45
	v_add_f32_e32 v12, v93, v11
	v_fmamk_f32 v11, v25, 0x3f0a6770, v29
	v_add_f32_e32 v93, v101, v100
	v_fmamk_f32 v100, v49, 0xbf75a155, v102
	v_mul_f32_e32 v101, 0x3f7d64f0, v50
	s_delay_alu instid0(VALU_DEP_4) | instskip(NEXT) | instid1(VALU_DEP_3)
	v_add_f32_e32 v11, v5, v11
	v_add_f32_e32 v13, v100, v93
	s_delay_alu instid0(VALU_DEP_3) | instskip(NEXT) | instid1(VALU_DEP_3)
	v_fmamk_f32 v93, v51, 0xbe11bafb, v101
	v_dual_mul_f32 v100, 0x3f0a6770, v70 :: v_dual_add_f32 v11, v103, v11
	v_fmamk_f32 v103, v44, 0x3f7d64f0, v104
	s_delay_alu instid0(VALU_DEP_3) | instskip(NEXT) | instid1(VALU_DEP_3)
	v_dual_fmac_f32 v104, 0xbf7d64f0, v44 :: v_dual_add_f32 v13, v93, v13
	v_fmamk_f32 v93, v71, 0x3f575c64, v100
	s_delay_alu instid0(VALU_DEP_3) | instskip(NEXT) | instid1(VALU_DEP_2)
	v_add_f32_e32 v103, v103, v11
	v_add_f32_e32 v11, v93, v13
	;; [unrolled: 1-line block ×4, first 2 shown]
	s_delay_alu instid0(VALU_DEP_4) | instskip(SKIP_1) | instid1(VALU_DEP_4)
	v_add_f32_e32 v16, v32, v103
	v_fmamk_f32 v24, v38, 0x3f575c64, v43
	v_dual_mul_f32 v32, 0xbf68dda4, v20 :: v_dual_add_f32 v13, v23, v13
	s_delay_alu instid0(VALU_DEP_4) | instskip(NEXT) | instid1(VALU_DEP_3)
	v_dual_add_f32 v14, v31, v14 :: v_dual_mul_f32 v23, 0xbf75a155, v48
	v_add_f32_e32 v20, v4, v24
	s_delay_alu instid0(VALU_DEP_3) | instskip(NEXT) | instid1(VALU_DEP_3)
	v_dual_fmamk_f32 v24, v46, 0x3ed4b147, v32 :: v_dual_add_f32 v13, v39, v13
	v_add_f32_e32 v14, v18, v14
	s_delay_alu instid0(VALU_DEP_4) | instskip(SKIP_1) | instid1(VALU_DEP_4)
	v_fmamk_f32 v18, v45, 0x3e903f40, v23
	v_mul_f32_e32 v34, 0xbf4178ce, v50
	v_dual_add_f32 v20, v24, v20 :: v_dual_add_f32 v13, v21, v13
	s_delay_alu instid0(VALU_DEP_3) | instskip(SKIP_2) | instid1(VALU_DEP_4)
	v_dual_add_f32 v21, v37, v14 :: v_dual_add_f32 v14, v18, v16
	v_fmac_f32_e32 v29, 0xbf0a6770, v25
	v_fma_f32 v6, 0x3ed4b147, v46, -v32
	v_dual_add_f32 v13, v22, v13 :: v_dual_add_f32 v22, v5, v79
	s_delay_alu instid0(VALU_DEP_4) | instskip(NEXT) | instid1(VALU_DEP_2)
	v_dual_add_f32 v16, v41, v21 :: v_dual_mul_f32 v21, 0xbe903f40, v70
	v_dual_add_f32 v13, v15, v13 :: v_dual_add_f32 v22, v81, v22
	v_mul_f32_e32 v31, 0xbf7d64f0, v47
	s_delay_alu instid0(VALU_DEP_1) | instskip(NEXT) | instid1(VALU_DEP_1)
	v_dual_add_f32 v15, v40, v16 :: v_dual_fmamk_f32 v24, v49, 0xbe11bafb, v31
	v_dual_add_f32 v15, v42, v15 :: v_dual_add_f32 v18, v24, v20
	v_fmamk_f32 v20, v51, 0xbf27a4f4, v34
	v_fma_f32 v24, 0xbf75a155, v51, -v82
	s_delay_alu instid0(VALU_DEP_2) | instskip(SKIP_3) | instid1(VALU_DEP_3)
	v_dual_add_f32 v15, v35, v15 :: v_dual_add_f32 v16, v20, v18
	v_fmamk_f32 v18, v71, 0xbf75a155, v21
	v_add_f32_e32 v20, v28, v13
	v_fma_f32 v28, 0x3ed4b147, v71, -v84
	v_add_f32_e32 v13, v18, v16
	v_fma_f32 v18, 0xbf27a4f4, v38, -v69
	s_delay_alu instid0(VALU_DEP_4) | instskip(SKIP_2) | instid1(VALU_DEP_4)
	v_add_f32_e32 v16, v30, v20
	v_fma_f32 v20, 0xbe11bafb, v46, -v72
	v_fma_f32 v30, 0xbf27a4f4, v46, -v99
	v_add_f32_e32 v18, v4, v18
	s_delay_alu instid0(VALU_DEP_1) | instskip(SKIP_2) | instid1(VALU_DEP_2)
	v_add_f32_e32 v18, v20, v18
	v_fma_f32 v20, 0x3f575c64, v49, -v80
	v_fma_f32 v25, 0x3f575c64, v38, -v43
	v_add_f32_e32 v20, v20, v18
	v_add_f32_e32 v18, v78, v17
	v_fmac_f32_e32 v23, 0xbe903f40, v45
	s_delay_alu instid0(VALU_DEP_3) | instskip(SKIP_3) | instid1(VALU_DEP_4)
	v_dual_add_f32 v17, v24, v20 :: v_dual_add_f32 v20, v83, v22
	v_add_f32_e32 v22, v4, v27
	v_fma_f32 v24, 0xbf75a155, v46, -v88
	v_add_f32_e32 v27, v5, v89
	v_add_f32_e32 v17, v28, v17
	v_fma_f32 v28, 0x3ed4b147, v38, -v97
	s_delay_alu instid0(VALU_DEP_4) | instskip(SKIP_1) | instid1(VALU_DEP_3)
	v_dual_add_f32 v5, v5, v29 :: v_dual_add_f32 v22, v24, v22
	v_fma_f32 v24, 0x3ed4b147, v49, -v90
	v_dual_add_f32 v27, v91, v27 :: v_dual_add_f32 v28, v4, v28
	v_add_f32_e32 v4, v4, v25
	s_delay_alu instid0(VALU_DEP_3) | instskip(SKIP_1) | instid1(VALU_DEP_4)
	v_dual_add_f32 v5, v26, v5 :: v_dual_add_f32 v22, v24, v22
	v_fma_f32 v24, 0x3f575c64, v51, -v92
	v_add_f32_e32 v25, v30, v28
	v_fma_f32 v28, 0xbf75a155, v49, -v102
	v_add_f32_e32 v4, v6, v4
	;; [unrolled: 2-line block ×3, first 2 shown]
	v_dual_add_f32 v20, v85, v20 :: v_dual_add_f32 v27, v94, v27
	s_delay_alu instid0(VALU_DEP_3)
	v_dual_add_f32 v25, v28, v25 :: v_dual_add_f32 v4, v6, v4
	v_fma_f32 v26, 0xbe11bafb, v51, -v101
	v_add_f32_e32 v5, v104, v5
	v_fma_f32 v6, 0xbf27a4f4, v51, -v34
	v_add_f32_e32 v22, v24, v22
	v_fma_f32 v24, 0xbf27a4f4, v71, -v95
	v_dual_add_f32 v20, v87, v20 :: v_dual_add_f32 v27, v96, v27
	v_add_f32_e32 v25, v26, v25
	v_fma_f32 v26, 0x3f575c64, v71, -v100
	v_add_f32_e32 v28, v36, v5
	v_add_f32_e32 v6, v6, v4
	v_fma_f32 v21, 0xbf75a155, v71, -v21
	v_add_f32_e32 v19, v24, v22
	v_add_f32_e32 v5, v98, v27
	;; [unrolled: 1-line block ×3, first 2 shown]
	s_delay_alu instid0(VALU_DEP_4)
	v_dual_add_f32 v22, v23, v28 :: v_dual_add_f32 v21, v21, v6
	ds_store_b64 v76, v[15:16]
	ds_store_2addr_b64 v73, v[13:14], v[11:12] offset0:24 offset1:48
	ds_store_2addr_b64 v73, v[9:10], v[7:8] offset0:72 offset1:96
	;; [unrolled: 1-line block ×5, first 2 shown]
.LBB0_17:
	s_wait_alu 0xfffe
	s_or_b32 exec_lo, exec_lo, s1
	global_wb scope:SCOPE_SE
	s_wait_dscnt 0x0
	s_barrier_signal -1
	s_barrier_wait -1
	global_inv scope:SCOPE_SE
	ds_load_2addr_b64 v[0:3], v76 offset1:33
	ds_load_b64 v[12:13], v73 offset:528
	ds_load_2addr_b64 v[4:7], v76 offset0:99 offset1:132
	ds_load_2addr_b64 v[8:11], v76 offset0:165 offset1:198
	ds_load_b64 v[16:17], v76 offset:1848
	v_mad_co_u64_u32 v[14:15], null, s6, v52, 0
	s_mov_b32 s0, 0xf07c1f08
	s_mov_b32 s1, 0x3f6f07c1
	v_mad_co_u64_u32 v[34:35], null, s4, v75, 0
	s_wait_dscnt 0x4
	v_dual_mul_f32 v19, v54, v0 :: v_dual_mul_f32 v20, v56, v3
	s_wait_dscnt 0x2
	v_dual_mul_f32 v22, v58, v13 :: v_dual_mul_f32 v25, v60, v4
	;; [unrolled: 2-line block ×3, first 2 shown]
	v_dual_fmac_f32 v20, v55, v2 :: v_dual_mul_f32 v33, v68, v16
	s_delay_alu instid0(VALU_DEP_3) | instskip(NEXT) | instid1(VALU_DEP_3)
	v_fmac_f32_e32 v22, v57, v12
	v_fma_f32 v31, v65, v11, -v31
	s_delay_alu instid0(VALU_DEP_4) | instskip(SKIP_2) | instid1(VALU_DEP_4)
	v_fmac_f32_e32 v32, v67, v16
	v_dual_mul_f32 v18, v54, v1 :: v_dual_mul_f32 v21, v56, v2
	v_fma_f32 v33, v67, v17, -v33
	v_cvt_f64_f32_e32 v[16:17], v31
	v_dual_mul_f32 v23, v58, v12 :: v_dual_mul_f32 v24, v60, v5
	s_delay_alu instid0(VALU_DEP_4)
	v_dual_fmac_f32 v18, v53, v0 :: v_dual_mul_f32 v27, v64, v6
	v_mul_f32_e32 v26, v64, v7
	v_fma_f32 v19, v53, v1, -v19
	v_fma_f32 v21, v55, v3, -v21
	v_mul_f32_e32 v30, v66, v11
	v_fma_f32 v23, v57, v13, -v23
	v_fmac_f32_e32 v24, v59, v4
	v_fma_f32 v25, v59, v5, -v25
	v_fmac_f32_e32 v26, v63, v6
	v_fma_f32 v27, v63, v7, -v27
	v_cvt_f64_f32_e32 v[0:1], v18
	v_cvt_f64_f32_e32 v[2:3], v19
	;; [unrolled: 1-line block ×4, first 2 shown]
	v_fmac_f32_e32 v30, v65, v10
	v_cvt_f64_f32_e32 v[20:21], v22
	v_cvt_f64_f32_e32 v[22:23], v23
	;; [unrolled: 1-line block ×9, first 2 shown]
	v_mad_co_u64_u32 v[36:37], null, s7, v52, v[15:16]
	v_mul_f32_e32 v28, v62, v9
	s_wait_alu 0xfffe
	v_mul_f64_e32 v[16:17], s[0:1], v[16:17]
	s_delay_alu instid0(VALU_DEP_2) | instskip(SKIP_2) | instid1(VALU_DEP_3)
	v_dual_mov_b32 v15, v36 :: v_dual_fmac_f32 v28, v61, v8
	v_mul_f32_e32 v8, v62, v8
	v_mad_co_u64_u32 v[35:36], null, s5, v75, v[35:36]
	v_lshlrev_b64_e32 v[14:15], 3, v[14:15]
	s_delay_alu instid0(VALU_DEP_4) | instskip(NEXT) | instid1(VALU_DEP_4)
	v_cvt_f64_f32_e32 v[28:29], v28
	v_fma_f32 v8, v61, v9, -v8
	v_mul_f64_e32 v[0:1], s[0:1], v[0:1]
	v_mul_f64_e32 v[2:3], s[0:1], v[2:3]
	;; [unrolled: 1-line block ×4, first 2 shown]
	v_cvt_f64_f32_e32 v[8:9], v8
	v_mul_f64_e32 v[20:21], s[0:1], v[20:21]
	v_mul_f64_e32 v[22:23], s[0:1], v[22:23]
	;; [unrolled: 1-line block ×9, first 2 shown]
	v_lshlrev_b64_e32 v[34:35], 3, v[34:35]
	v_add_co_u32 v14, vcc_lo, s2, v14
	s_wait_alu 0xfffd
	v_add_co_ci_u32_e32 v15, vcc_lo, s3, v15, vcc_lo
	s_delay_alu instid0(VALU_DEP_2) | instskip(SKIP_1) | instid1(VALU_DEP_2)
	v_add_co_u32 v14, vcc_lo, v14, v34
	s_wait_alu 0xfffd
	v_add_co_ci_u32_e32 v15, vcc_lo, v15, v35, vcc_lo
	v_mul_f64_e32 v[28:29], s[0:1], v[28:29]
	v_cvt_f32_f64_e32 v0, v[0:1]
	v_cvt_f32_f64_e32 v1, v[2:3]
	;; [unrolled: 1-line block ×4, first 2 shown]
	v_mul_f64_e32 v[8:9], s[0:1], v[8:9]
	v_cvt_f32_f64_e32 v12, v[20:21]
	v_cvt_f32_f64_e32 v13, v[22:23]
	;; [unrolled: 1-line block ×4, first 2 shown]
	s_mul_u64 s[0:1], s[4:5], 0x108
	v_cvt_f32_f64_e32 v6, v[24:25]
	v_cvt_f32_f64_e32 v7, v[26:27]
	s_wait_alu 0xfffe
	v_add_co_u32 v34, vcc_lo, v14, s0
	s_wait_alu 0xfffd
	v_add_co_ci_u32_e32 v35, vcc_lo, s1, v15, vcc_lo
	v_cvt_f32_f64_e32 v18, v[28:29]
	v_cvt_f32_f64_e32 v19, v[8:9]
	;; [unrolled: 1-line block ×6, first 2 shown]
	v_add_co_u32 v16, vcc_lo, v34, s0
	s_wait_alu 0xfffd
	v_add_co_ci_u32_e32 v17, vcc_lo, s1, v35, vcc_lo
	s_delay_alu instid0(VALU_DEP_2) | instskip(SKIP_1) | instid1(VALU_DEP_2)
	v_add_co_u32 v20, vcc_lo, v16, s0
	s_wait_alu 0xfffd
	v_add_co_ci_u32_e32 v21, vcc_lo, s1, v17, vcc_lo
	s_delay_alu instid0(VALU_DEP_2) | instskip(SKIP_1) | instid1(VALU_DEP_2)
	;; [unrolled: 4-line block ×5, first 2 shown]
	v_add_co_u32 v28, vcc_lo, v26, s0
	s_wait_alu 0xfffd
	v_add_co_ci_u32_e32 v29, vcc_lo, s1, v27, vcc_lo
	s_clause 0x4
	global_store_b64 v[14:15], v[0:1], off
	global_store_b64 v[34:35], v[2:3], off
	;; [unrolled: 1-line block ×8, first 2 shown]
.LBB0_18:
	s_nop 0
	s_sendmsg sendmsg(MSG_DEALLOC_VGPRS)
	s_endpgm
	.section	.rodata,"a",@progbits
	.p2align	6, 0x0
	.amdhsa_kernel bluestein_single_back_len264_dim1_sp_op_CI_CI
		.amdhsa_group_segment_fixed_size 14784
		.amdhsa_private_segment_fixed_size 0
		.amdhsa_kernarg_size 104
		.amdhsa_user_sgpr_count 2
		.amdhsa_user_sgpr_dispatch_ptr 0
		.amdhsa_user_sgpr_queue_ptr 0
		.amdhsa_user_sgpr_kernarg_segment_ptr 1
		.amdhsa_user_sgpr_dispatch_id 0
		.amdhsa_user_sgpr_private_segment_size 0
		.amdhsa_wavefront_size32 1
		.amdhsa_uses_dynamic_stack 0
		.amdhsa_enable_private_segment 0
		.amdhsa_system_sgpr_workgroup_id_x 1
		.amdhsa_system_sgpr_workgroup_id_y 0
		.amdhsa_system_sgpr_workgroup_id_z 0
		.amdhsa_system_sgpr_workgroup_info 0
		.amdhsa_system_vgpr_workitem_id 0
		.amdhsa_next_free_vgpr 181
		.amdhsa_next_free_sgpr 20
		.amdhsa_reserve_vcc 1
		.amdhsa_float_round_mode_32 0
		.amdhsa_float_round_mode_16_64 0
		.amdhsa_float_denorm_mode_32 3
		.amdhsa_float_denorm_mode_16_64 3
		.amdhsa_fp16_overflow 0
		.amdhsa_workgroup_processor_mode 1
		.amdhsa_memory_ordered 1
		.amdhsa_forward_progress 0
		.amdhsa_round_robin_scheduling 0
		.amdhsa_exception_fp_ieee_invalid_op 0
		.amdhsa_exception_fp_denorm_src 0
		.amdhsa_exception_fp_ieee_div_zero 0
		.amdhsa_exception_fp_ieee_overflow 0
		.amdhsa_exception_fp_ieee_underflow 0
		.amdhsa_exception_fp_ieee_inexact 0
		.amdhsa_exception_int_div_zero 0
	.end_amdhsa_kernel
	.text
.Lfunc_end0:
	.size	bluestein_single_back_len264_dim1_sp_op_CI_CI, .Lfunc_end0-bluestein_single_back_len264_dim1_sp_op_CI_CI
                                        ; -- End function
	.section	.AMDGPU.csdata,"",@progbits
; Kernel info:
; codeLenInByte = 9552
; NumSgprs: 22
; NumVgprs: 181
; ScratchSize: 0
; MemoryBound: 0
; FloatMode: 240
; IeeeMode: 1
; LDSByteSize: 14784 bytes/workgroup (compile time only)
; SGPRBlocks: 2
; VGPRBlocks: 22
; NumSGPRsForWavesPerEU: 22
; NumVGPRsForWavesPerEU: 181
; Occupancy: 8
; WaveLimiterHint : 1
; COMPUTE_PGM_RSRC2:SCRATCH_EN: 0
; COMPUTE_PGM_RSRC2:USER_SGPR: 2
; COMPUTE_PGM_RSRC2:TRAP_HANDLER: 0
; COMPUTE_PGM_RSRC2:TGID_X_EN: 1
; COMPUTE_PGM_RSRC2:TGID_Y_EN: 0
; COMPUTE_PGM_RSRC2:TGID_Z_EN: 0
; COMPUTE_PGM_RSRC2:TIDIG_COMP_CNT: 0
	.text
	.p2alignl 7, 3214868480
	.fill 96, 4, 3214868480
	.type	__hip_cuid_27e76dbabbe278b4,@object ; @__hip_cuid_27e76dbabbe278b4
	.section	.bss,"aw",@nobits
	.globl	__hip_cuid_27e76dbabbe278b4
__hip_cuid_27e76dbabbe278b4:
	.byte	0                               ; 0x0
	.size	__hip_cuid_27e76dbabbe278b4, 1

	.ident	"AMD clang version 19.0.0git (https://github.com/RadeonOpenCompute/llvm-project roc-6.4.0 25133 c7fe45cf4b819c5991fe208aaa96edf142730f1d)"
	.section	".note.GNU-stack","",@progbits
	.addrsig
	.addrsig_sym __hip_cuid_27e76dbabbe278b4
	.amdgpu_metadata
---
amdhsa.kernels:
  - .args:
      - .actual_access:  read_only
        .address_space:  global
        .offset:         0
        .size:           8
        .value_kind:     global_buffer
      - .actual_access:  read_only
        .address_space:  global
        .offset:         8
        .size:           8
        .value_kind:     global_buffer
      - .actual_access:  read_only
        .address_space:  global
        .offset:         16
        .size:           8
        .value_kind:     global_buffer
      - .actual_access:  read_only
        .address_space:  global
        .offset:         24
        .size:           8
        .value_kind:     global_buffer
      - .actual_access:  read_only
        .address_space:  global
        .offset:         32
        .size:           8
        .value_kind:     global_buffer
      - .offset:         40
        .size:           8
        .value_kind:     by_value
      - .address_space:  global
        .offset:         48
        .size:           8
        .value_kind:     global_buffer
      - .address_space:  global
        .offset:         56
        .size:           8
        .value_kind:     global_buffer
      - .address_space:  global
        .offset:         64
        .size:           8
        .value_kind:     global_buffer
      - .address_space:  global
        .offset:         72
        .size:           8
        .value_kind:     global_buffer
      - .offset:         80
        .size:           4
        .value_kind:     by_value
      - .address_space:  global
        .offset:         88
        .size:           8
        .value_kind:     global_buffer
      - .address_space:  global
        .offset:         96
        .size:           8
        .value_kind:     global_buffer
    .group_segment_fixed_size: 14784
    .kernarg_segment_align: 8
    .kernarg_segment_size: 104
    .language:       OpenCL C
    .language_version:
      - 2
      - 0
    .max_flat_workgroup_size: 231
    .name:           bluestein_single_back_len264_dim1_sp_op_CI_CI
    .private_segment_fixed_size: 0
    .sgpr_count:     22
    .sgpr_spill_count: 0
    .symbol:         bluestein_single_back_len264_dim1_sp_op_CI_CI.kd
    .uniform_work_group_size: 1
    .uses_dynamic_stack: false
    .vgpr_count:     181
    .vgpr_spill_count: 0
    .wavefront_size: 32
    .workgroup_processor_mode: 1
amdhsa.target:   amdgcn-amd-amdhsa--gfx1201
amdhsa.version:
  - 1
  - 2
...

	.end_amdgpu_metadata
